;; amdgpu-corpus repo=ROCm/rocFFT kind=compiled arch=gfx950 opt=O3
	.text
	.amdgcn_target "amdgcn-amd-amdhsa--gfx950"
	.amdhsa_code_object_version 6
	.protected	bluestein_single_back_len6561_dim1_half_op_CI_CI ; -- Begin function bluestein_single_back_len6561_dim1_half_op_CI_CI
	.globl	bluestein_single_back_len6561_dim1_half_op_CI_CI
	.p2align	8
	.type	bluestein_single_back_len6561_dim1_half_op_CI_CI,@function
bluestein_single_back_len6561_dim1_half_op_CI_CI: ; @bluestein_single_back_len6561_dim1_half_op_CI_CI
; %bb.0:
	s_load_dwordx4 s[4:7], s[0:1], 0x28
	v_mul_u32_u24_e32 v1, 0x10e, v0
	v_add_u32_sdwa v236, s2, v1 dst_sel:DWORD dst_unused:UNUSED_PAD src0_sel:DWORD src1_sel:WORD_1
	v_mov_b32_e32 v237, 0
	s_waitcnt lgkmcnt(0)
	v_cmp_gt_u64_e32 vcc, s[4:5], v[236:237]
	s_and_saveexec_b64 s[2:3], vcc
	s_cbranch_execz .LBB0_2
; %bb.1:
	s_load_dwordx4 s[12:15], s[0:1], 0x18
	s_load_dwordx4 s[8:11], s[0:1], 0x0
	v_mov_b32_e32 v8, s6
	v_mov_b32_e32 v9, s7
	s_movk_i32 s16, 0xf3
	s_waitcnt lgkmcnt(0)
	s_load_dwordx4 s[4:7], s[14:15], 0x0
	v_mul_lo_u16_sdwa v1, v1, s16 dst_sel:DWORD dst_unused:UNUSED_PAD src0_sel:WORD_1 src1_sel:DWORD
	s_load_dwordx4 s[12:15], s[12:13], 0x0
	v_sub_u16_e32 v140, v0, v1
	v_mov_b32_e32 v182, 0x222c
	s_waitcnt lgkmcnt(0)
	v_mad_u64_u32 v[180:181], s[2:3], s6, v236, 0
	v_mad_u64_u32 v[10:11], s[2:3], s14, v236, 0
	v_mov_b32_e32 v12, v11
	v_mad_u64_u32 v[12:13], s[2:3], s15, v236, v[12:13]
	v_mov_b32_e32 v11, v12
	v_mad_u64_u32 v[12:13], s[2:3], s12, v140, 0
	v_mov_b32_e32 v2, v13
	v_mad_u64_u32 v[14:15], s[2:3], s13, v140, v[2:3]
	v_mov_b32_e32 v6, v181
	v_mov_b32_e32 v13, v14
	v_lshl_add_u64 v[8:9], v[10:11], 2, v[8:9]
	v_mad_u64_u32 v[0:1], s[2:3], s7, v236, v[6:7]
	v_lshl_add_u64 v[10:11], v[12:13], 2, v[8:9]
	v_accvgpr_write_b32 a0, v0
	global_load_dword v0, v[10:11], off
	v_lshlrev_b32_e32 v236, 2, v140
	v_mad_u64_u32 v[10:11], s[2:3], s12, v182, v[10:11]
	v_lshl_add_u64 v[8:9], s[8:9], 0, v[236:237]
	s_mul_i32 s2, s13, 0x222c
	s_movk_i32 s6, 0x2000
	global_load_dword v7, v236, s[8:9]
	v_add_u32_e32 v11, s2, v11
	v_add_co_u32_e32 v12, vcc, s6, v8
	global_load_dword v1, v[10:11], off
	s_nop 0
	v_addc_co_u32_e32 v13, vcc, 0, v9, vcc
	global_load_dword v174, v[12:13], off offset:556
	s_movk_i32 s3, 0x4000
	v_mad_u64_u32 v[14:15], s[14:15], s12, v182, v[10:11]
	v_add_co_u32_e32 v10, vcc, s3, v8
	v_add_u32_e32 v15, s2, v15
	s_nop 0
	v_addc_co_u32_e32 v11, vcc, 0, v9, vcc
	global_load_dword v173, v[10:11], off offset:1112
	global_load_dword v5, v[14:15], off
	v_mov_b32_e32 v235, 0xffffbf74
	s_mul_i32 s3, s13, 0xffffbf74
	v_mad_u64_u32 v[14:15], s[14:15], s12, v235, v[14:15]
	s_sub_i32 s3, s3, s12
	v_add_u32_e32 v15, s3, v15
	global_load_dword v6, v[14:15], off
	global_load_dword v172, v236, s[8:9] offset:972
	v_mad_u64_u32 v[14:15], s[14:15], s12, v182, v[14:15]
	v_add_u32_e32 v15, s2, v15
	global_load_dword v16, v[14:15], off
	global_load_dword v171, v[12:13], off offset:1528
	v_mad_u64_u32 v[14:15], s[14:15], s12, v182, v[14:15]
	v_add_u32_e32 v15, s2, v15
	global_load_dword v17, v[14:15], off
	global_load_dword v169, v[10:11], off offset:2084
	v_mad_u64_u32 v[14:15], s[14:15], s12, v235, v[14:15]
	v_add_u32_e32 v15, s3, v15
	global_load_dword v18, v[14:15], off
	global_load_dword v168, v236, s[8:9] offset:1944
	v_mad_u64_u32 v[14:15], s[14:15], s12, v182, v[14:15]
	v_add_u32_e32 v15, s2, v15
	global_load_dword v19, v[14:15], off
	global_load_dword v166, v[12:13], off offset:2500
	global_load_dword v162, v236, s[8:9] offset:2916
	global_load_dword v156, v236, s[8:9] offset:3888
	global_load_dword v165, v[10:11], off offset:3056
	v_mad_u64_u32 v[14:15], s[8:9], s12, v182, v[14:15]
	v_add_u32_e32 v15, s2, v15
	global_load_dword v20, v[14:15], off
	v_mad_u64_u32 v[14:15], s[8:9], s12, v235, v[14:15]
	v_add_u32_e32 v15, s3, v15
	global_load_dword v21, v[14:15], off
	global_load_dword v161, v[12:13], off offset:3472
	global_load_dword v142, v[10:11], off offset:140
	;; [unrolled: 1-line block ×3, first 2 shown]
	s_movk_i32 s7, 0x3000
	v_add_u32_e32 v177, 0x25e0, v236
	v_add_u32_e32 v2, 0x4800, v236
	;; [unrolled: 1-line block ×4, first 2 shown]
	v_accvgpr_write_b32 a1, v2
	v_add_u32_e32 v167, 0xf00, v236
	v_add_u32_e32 v158, 0x3500, v236
	;; [unrolled: 1-line block ×9, first 2 shown]
	s_load_dwordx2 s[0:1], s[0:1], 0x38
	s_waitcnt vmcnt(23)
	v_lshrrev_b32_e32 v22, 16, v0
	s_waitcnt vmcnt(22)
	v_mul_f16_sdwa v23, v7, v0 dst_sel:DWORD dst_unused:UNUSED_PAD src0_sel:WORD_1 src1_sel:DWORD
	v_mul_f16_sdwa v24, v7, v22 dst_sel:DWORD dst_unused:UNUSED_PAD src0_sel:WORD_1 src1_sel:DWORD
	v_fma_f16 v22, v7, v22, -v23
	v_fma_f16 v0, v7, v0, v24
	s_waitcnt vmcnt(21)
	v_lshrrev_b32_e32 v23, 16, v1
	v_pack_b32_f16 v0, v0, v22
	s_waitcnt vmcnt(20)
	v_mul_f16_sdwa v12, v174, v23 dst_sel:DWORD dst_unused:UNUSED_PAD src0_sel:WORD_1 src1_sel:DWORD
	v_fma_f16 v22, v174, v1, v12
	v_mad_u64_u32 v[12:13], s[8:9], s12, v182, v[14:15]
	v_add_u32_e32 v13, s2, v13
	global_load_dword v14, v[12:13], off
	v_mul_f16_sdwa v1, v174, v1 dst_sel:DWORD dst_unused:UNUSED_PAD src0_sel:WORD_1 src1_sel:DWORD
	v_fma_f16 v1, v174, v23, -v1
	v_pack_b32_f16 v1, v22, v1
	ds_write_b32 v236, v1 offset:8748
	s_waitcnt vmcnt(19)
	v_lshrrev_b32_e32 v1, 16, v5
	v_mul_f16_sdwa v15, v173, v1 dst_sel:DWORD dst_unused:UNUSED_PAD src0_sel:WORD_1 src1_sel:DWORD
	v_fma_f16 v15, v173, v5, v15
	v_mul_f16_sdwa v5, v173, v5 dst_sel:DWORD dst_unused:UNUSED_PAD src0_sel:WORD_1 src1_sel:DWORD
	v_fma_f16 v1, v173, v1, -v5
	v_pack_b32_f16 v1, v15, v1
	v_mad_u64_u32 v[12:13], s[8:9], s12, v182, v[12:13]
	ds_write_b32 v236, v1 offset:17496
	s_waitcnt vmcnt(18)
	v_lshrrev_b32_e32 v1, 16, v6
	v_add_u32_e32 v13, s2, v13
	s_waitcnt vmcnt(17)
	v_mul_f16_sdwa v5, v172, v1 dst_sel:DWORD dst_unused:UNUSED_PAD src0_sel:WORD_1 src1_sel:DWORD
	global_load_dword v23, v[12:13], off
	v_fma_f16 v5, v172, v6, v5
	v_mul_f16_sdwa v6, v172, v6 dst_sel:DWORD dst_unused:UNUSED_PAD src0_sel:WORD_1 src1_sel:DWORD
	v_fma_f16 v1, v172, v1, -v6
	v_pack_b32_f16 v1, v5, v1
	ds_write2_b32 v236, v0, v1 offset1:243
	s_waitcnt vmcnt(17)
	v_lshrrev_b32_e32 v0, 16, v16
	v_mad_u64_u32 v[10:11], s[8:9], s12, v235, v[12:13]
	s_waitcnt vmcnt(16)
	v_mul_f16_sdwa v1, v171, v0 dst_sel:DWORD dst_unused:UNUSED_PAD src0_sel:WORD_1 src1_sel:DWORD
	v_mul_f16_sdwa v5, v171, v16 dst_sel:DWORD dst_unused:UNUSED_PAD src0_sel:WORD_1 src1_sel:DWORD
	v_add_u32_e32 v11, s3, v11
	v_fma_f16 v1, v171, v16, v1
	v_fma_f16 v0, v171, v0, -v5
	global_load_dword v16, v[10:11], off
	v_pack_b32_f16 v0, v1, v0
	s_waitcnt vmcnt(16)
	v_lshrrev_b32_e32 v1, 16, v17
	s_waitcnt vmcnt(15)
	v_mul_f16_sdwa v5, v169, v1 dst_sel:DWORD dst_unused:UNUSED_PAD src0_sel:WORD_1 src1_sel:DWORD
	v_mul_f16_sdwa v6, v169, v17 dst_sel:DWORD dst_unused:UNUSED_PAD src0_sel:WORD_1 src1_sel:DWORD
	v_fma_f16 v5, v169, v17, v5
	v_fma_f16 v1, v169, v1, -v6
	v_pack_b32_f16 v1, v5, v1
	s_waitcnt vmcnt(14)
	v_lshrrev_b32_e32 v5, 16, v18
	s_waitcnt vmcnt(13)
	v_mul_f16_sdwa v6, v168, v5 dst_sel:DWORD dst_unused:UNUSED_PAD src0_sel:WORD_1 src1_sel:DWORD
	v_mul_f16_sdwa v12, v168, v18 dst_sel:DWORD dst_unused:UNUSED_PAD src0_sel:WORD_1 src1_sel:DWORD
	v_fma_f16 v6, v168, v18, v6
	v_fma_f16 v5, v168, v5, -v12
	;; [unrolled: 8-line block ×3, first 2 shown]
	v_mad_u64_u32 v[10:11], s[8:9], s12, v182, v[10:11]
	v_pack_b32_f16 v6, v12, v6
	v_add_u32_e32 v11, s2, v11
	v_add_co_u32_e32 v12, vcc, s7, v8
	global_load_dword v17, v[10:11], off
	s_nop 0
	v_addc_co_u32_e32 v13, vcc, 0, v9, vcc
	global_load_dword v160, v[12:13], off offset:348
	ds_write2_b32 v177, v0, v6 offset0:6 offset1:249
	s_waitcnt vmcnt(9)
	v_lshrrev_b32_e32 v0, 16, v20
	v_mul_f16_sdwa v6, v165, v0 dst_sel:DWORD dst_unused:UNUSED_PAD src0_sel:WORD_1 src1_sel:DWORD
	v_mul_f16_sdwa v15, v165, v20 dst_sel:DWORD dst_unused:UNUSED_PAD src0_sel:WORD_1 src1_sel:DWORD
	v_fma_f16 v6, v165, v20, v6
	v_fma_f16 v0, v165, v0, -v15
	v_pack_b32_f16 v0, v6, v0
	ds_write2_b32 v2, v1, v0 offset0:9 offset1:252
	s_waitcnt vmcnt(8)
	v_lshrrev_b32_e32 v0, 16, v21
	v_mul_f16_sdwa v1, v162, v0 dst_sel:DWORD dst_unused:UNUSED_PAD src0_sel:WORD_1 src1_sel:DWORD
	v_mul_f16_sdwa v6, v162, v21 dst_sel:DWORD dst_unused:UNUSED_PAD src0_sel:WORD_1 src1_sel:DWORD
	v_fma_f16 v1, v162, v21, v1
	v_fma_f16 v0, v162, v0, -v6
	v_pack_b32_f16 v0, v1, v0
	v_mad_u64_u32 v[10:11], s[8:9], s12, v182, v[10:11]
	ds_write2_b32 v175, v5, v0 offset0:6 offset1:249
	v_add_u32_e32 v11, s2, v11
	s_movk_i32 s7, 0x5000
	v_add_u32_e32 v2, 0x4fa0, v236
	s_waitcnt vmcnt(4)
	v_lshrrev_b32_e32 v0, 16, v14
	v_mul_f16_sdwa v5, v161, v14 dst_sel:DWORD dst_unused:UNUSED_PAD src0_sel:WORD_1 src1_sel:DWORD
	v_mul_f16_sdwa v1, v161, v0 dst_sel:DWORD dst_unused:UNUSED_PAD src0_sel:WORD_1 src1_sel:DWORD
	v_fma_f16 v0, v161, v0, -v5
	global_load_dword v5, v[10:11], off
	v_fma_f16 v1, v161, v14, v1
	v_add_co_u32_e32 v14, vcc, s7, v8
	v_mad_u64_u32 v[10:11], s[8:9], s12, v235, v[10:11]
	s_nop 0
	v_addc_co_u32_e32 v15, vcc, 0, v9, vcc
	global_load_dword v154, v[12:13], off offset:1320
	global_load_dword v150, v[12:13], off offset:2292
	;; [unrolled: 1-line block ×6, first 2 shown]
	s_movk_i32 s7, 0x1000
	v_add_u32_e32 v11, s3, v11
	v_add_co_u32_e32 v12, vcc, s7, v8
	global_load_dword v19, v[10:11], off
	s_nop 0
	v_addc_co_u32_e32 v13, vcc, 0, v9, vcc
	global_load_dword v157, v[12:13], off offset:764
	v_mad_u64_u32 v[10:11], s[8:9], s12, v182, v[10:11]
	v_pack_b32_f16 v0, v1, v0
	s_waitcnt vmcnt(12)
	v_lshrrev_b32_e32 v1, 16, v23
	v_mul_f16_sdwa v18, v163, v23 dst_sel:DWORD dst_unused:UNUSED_PAD src0_sel:WORD_1 src1_sel:DWORD
	v_add_u32_e32 v11, s2, v11
	v_mul_f16_sdwa v6, v163, v1 dst_sel:DWORD dst_unused:UNUSED_PAD src0_sel:WORD_1 src1_sel:DWORD
	v_fma_f16 v1, v163, v1, -v18
	global_load_dword v18, v[10:11], off
	v_mad_u64_u32 v[10:11], s[8:9], s12, v182, v[10:11]
	v_add_u32_e32 v11, s2, v11
	v_fma_f16 v6, v163, v23, v6
	global_load_dword v21, v[10:11], off
	v_pack_b32_f16 v1, v6, v1
	s_waitcnt vmcnt(13)
	v_lshrrev_b32_e32 v6, 16, v16
	v_mul_f16_sdwa v20, v156, v6 dst_sel:DWORD dst_unused:UNUSED_PAD src0_sel:WORD_1 src1_sel:DWORD
	v_mad_u64_u32 v[10:11], s[8:9], s12, v235, v[10:11]
	v_fma_f16 v20, v156, v16, v20
	v_mul_f16_sdwa v16, v156, v16 dst_sel:DWORD dst_unused:UNUSED_PAD src0_sel:WORD_1 src1_sel:DWORD
	v_add_u32_e32 v11, s3, v11
	v_fma_f16 v6, v156, v6, -v16
	global_load_dword v16, v[10:11], off
	global_load_dword v151, v[12:13], off offset:1736
	v_mad_u64_u32 v[10:11], s[8:9], s12, v182, v[10:11]
	v_add_u32_e32 v11, s2, v11
	v_pack_b32_f16 v6, v20, v6
	global_load_dword v20, v[10:11], off
	v_mad_u64_u32 v[10:11], s[8:9], s12, v182, v[10:11]
	v_add_u32_e32 v11, s2, v11
	global_load_dword v24, v[10:11], off
	v_mad_u64_u32 v[10:11], s[8:9], s12, v235, v[10:11]
	s_waitcnt vmcnt(16)
	v_lshrrev_b32_e32 v22, 16, v17
	v_add_u32_e32 v11, s3, v11
	s_movk_i32 s7, 0x6000
	s_waitcnt vmcnt(15)
	v_mul_f16_sdwa v23, v160, v22 dst_sel:DWORD dst_unused:UNUSED_PAD src0_sel:WORD_1 src1_sel:DWORD
	v_fma_f16 v23, v160, v17, v23
	v_mul_f16_sdwa v17, v160, v17 dst_sel:DWORD dst_unused:UNUSED_PAD src0_sel:WORD_1 src1_sel:DWORD
	v_fma_f16 v17, v160, v22, -v17
	global_load_dword v22, v[10:11], off
	global_load_dword v147, v[12:13], off offset:2708
	v_mad_u64_u32 v[10:11], s[8:9], s12, v182, v[10:11]
	v_add_u32_e32 v11, s2, v11
	v_pack_b32_f16 v17, v23, v17
	global_load_dword v23, v[10:11], off
	v_mad_u64_u32 v[10:11], s[8:9], s12, v182, v[10:11]
	v_add_u32_e32 v11, s2, v11
	global_load_dword v25, v[10:11], off
	v_add_co_u32_e32 v68, vcc, s7, v8
	v_mad_u64_u32 v[10:11], s[8:9], s12, v235, v[10:11]
	s_nop 0
	v_addc_co_u32_e32 v69, vcc, 0, v9, vcc
	global_load_dword v144, v[12:13], off offset:3680
	global_load_dword v143, v[68:69], off offset:696
	;; [unrolled: 1-line block ×3, first 2 shown]
	v_add_u32_e32 v11, s3, v11
	global_load_dword v12, v[10:11], off
	v_mad_u64_u32 v[10:11], s[8:9], s12, v182, v[10:11]
	v_add_u32_e32 v11, s2, v11
	global_load_dword v14, v[10:11], off
	ds_write2_b32 v170, v0, v17 offset0:4 offset1:247
	s_waitcnt vmcnt(23)
	v_lshrrev_b32_e32 v0, 16, v5
	v_mad_u64_u32 v[10:11], s[8:9], s12, v182, v[10:11]
	s_waitcnt vmcnt(20)
	v_mul_f16_sdwa v13, v159, v0 dst_sel:DWORD dst_unused:UNUSED_PAD src0_sel:WORD_1 src1_sel:DWORD
	v_fma_f16 v13, v159, v5, v13
	v_mul_f16_sdwa v5, v159, v5 dst_sel:DWORD dst_unused:UNUSED_PAD src0_sel:WORD_1 src1_sel:DWORD
	v_add_u32_e32 v11, s2, v11
	v_fma_f16 v0, v159, v0, -v5
	global_load_dword v5, v[10:11], off
	v_pack_b32_f16 v0, v13, v0
	ds_write2_b32 v2, v1, v0 offset0:7 offset1:250
	s_waitcnt vmcnt(17)
	v_lshrrev_b32_e32 v0, 16, v19
	v_accvgpr_write_b32 a4, v2
	s_waitcnt vmcnt(16)
	v_mul_f16_sdwa v1, v157, v0 dst_sel:DWORD dst_unused:UNUSED_PAD src0_sel:WORD_1 src1_sel:DWORD
	v_mul_f16_sdwa v10, v157, v19 dst_sel:DWORD dst_unused:UNUSED_PAD src0_sel:WORD_1 src1_sel:DWORD
	v_fma_f16 v1, v157, v19, v1
	v_fma_f16 v0, v157, v0, -v10
	v_pack_b32_f16 v0, v1, v0
	ds_write2_b32 v167, v6, v0 offset0:12 offset1:255
	v_add_u32_e32 v2, 0x5740, v236
	v_accvgpr_write_b32 a2, v2
	s_movk_i32 s2, 0x3aee
	s_waitcnt vmcnt(15)
	v_lshrrev_b32_e32 v0, 16, v18
	v_mul_f16_sdwa v1, v154, v0 dst_sel:DWORD dst_unused:UNUSED_PAD src0_sel:WORD_1 src1_sel:DWORD
	v_mul_f16_sdwa v6, v154, v18 dst_sel:DWORD dst_unused:UNUSED_PAD src0_sel:WORD_1 src1_sel:DWORD
	v_fma_f16 v1, v154, v18, v1
	v_fma_f16 v0, v154, v0, -v6
	v_pack_b32_f16 v0, v1, v0
	s_waitcnt vmcnt(14)
	v_lshrrev_b32_e32 v1, 16, v21
	v_mul_f16_sdwa v6, v153, v1 dst_sel:DWORD dst_unused:UNUSED_PAD src0_sel:WORD_1 src1_sel:DWORD
	v_mul_f16_sdwa v10, v153, v21 dst_sel:DWORD dst_unused:UNUSED_PAD src0_sel:WORD_1 src1_sel:DWORD
	v_fma_f16 v6, v153, v21, v6
	v_fma_f16 v1, v153, v1, -v10
	v_pack_b32_f16 v1, v6, v1
	s_mov_b32 s3, 0xbaee
	s_mov_b32 s7, 0
	s_waitcnt vmcnt(13)
	v_lshrrev_b32_e32 v6, 16, v16
	s_waitcnt vmcnt(12)
	v_mul_f16_sdwa v10, v151, v6 dst_sel:DWORD dst_unused:UNUSED_PAD src0_sel:WORD_1 src1_sel:DWORD
	v_mul_f16_sdwa v11, v151, v16 dst_sel:DWORD dst_unused:UNUSED_PAD src0_sel:WORD_1 src1_sel:DWORD
	v_fma_f16 v10, v151, v16, v10
	v_fma_f16 v6, v151, v6, -v11
	v_pack_b32_f16 v10, v10, v6
	s_waitcnt vmcnt(11)
	v_lshrrev_b32_e32 v6, 16, v20
	v_mul_f16_sdwa v11, v150, v6 dst_sel:DWORD dst_unused:UNUSED_PAD src0_sel:WORD_1 src1_sel:DWORD
	v_mul_f16_sdwa v13, v150, v20 dst_sel:DWORD dst_unused:UNUSED_PAD src0_sel:WORD_1 src1_sel:DWORD
	v_fma_f16 v11, v150, v20, v11
	v_fma_f16 v6, v150, v6, -v13
	v_pack_b32_f16 v6, v11, v6
	ds_write2_b32 v158, v0, v6 offset0:10 offset1:253
	s_waitcnt vmcnt(10)
	v_lshrrev_b32_e32 v0, 16, v24
	v_mul_f16_sdwa v6, v148, v0 dst_sel:DWORD dst_unused:UNUSED_PAD src0_sel:WORD_1 src1_sel:DWORD
	v_mul_f16_sdwa v11, v148, v24 dst_sel:DWORD dst_unused:UNUSED_PAD src0_sel:WORD_1 src1_sel:DWORD
	v_fma_f16 v6, v148, v24, v6
	v_fma_f16 v0, v148, v0, -v11
	v_pack_b32_f16 v0, v6, v0
	ds_write2_b32 v2, v1, v0 offset0:5 offset1:248
	s_waitcnt vmcnt(9)
	v_lshrrev_b32_e32 v0, 16, v22
	s_waitcnt vmcnt(8)
	v_mul_f16_sdwa v1, v147, v0 dst_sel:DWORD dst_unused:UNUSED_PAD src0_sel:WORD_1 src1_sel:DWORD
	v_mul_f16_sdwa v11, v147, v22 dst_sel:DWORD dst_unused:UNUSED_PAD src0_sel:WORD_1 src1_sel:DWORD
	v_fma_f16 v1, v147, v22, v1
	v_fma_f16 v0, v147, v0, -v11
	v_pack_b32_f16 v0, v1, v0
	ds_write2_b32 v155, v10, v0 offset0:2 offset1:245
	s_waitcnt vmcnt(7)
	v_lshrrev_b32_e32 v0, 16, v23
	v_mul_f16_sdwa v1, v146, v0 dst_sel:DWORD dst_unused:UNUSED_PAD src0_sel:WORD_1 src1_sel:DWORD
	v_mul_f16_sdwa v10, v146, v23 dst_sel:DWORD dst_unused:UNUSED_PAD src0_sel:WORD_1 src1_sel:DWORD
	v_fma_f16 v1, v146, v23, v1
	v_fma_f16 v0, v146, v0, -v10
	v_pack_b32_f16 v0, v1, v0
	s_waitcnt vmcnt(6)
	v_lshrrev_b32_e32 v1, 16, v25
	v_add_u32_e32 v2, 0x5ec0, v236
	v_mov_b32_e32 v141, s7
	s_waitcnt vmcnt(3)
	v_mul_f16_sdwa v10, v145, v1 dst_sel:DWORD dst_unused:UNUSED_PAD src0_sel:WORD_1 src1_sel:DWORD
	v_mul_f16_sdwa v11, v145, v25 dst_sel:DWORD dst_unused:UNUSED_PAD src0_sel:WORD_1 src1_sel:DWORD
	v_fma_f16 v10, v145, v25, v10
	v_fma_f16 v1, v145, v1, -v11
	v_pack_b32_f16 v1, v10, v1
	s_waitcnt vmcnt(2)
	v_lshrrev_b32_e32 v10, 16, v12
	v_mul_f16_sdwa v11, v144, v10 dst_sel:DWORD dst_unused:UNUSED_PAD src0_sel:WORD_1 src1_sel:DWORD
	v_fma_f16 v11, v144, v12, v11
	v_mul_f16_sdwa v12, v144, v12 dst_sel:DWORD dst_unused:UNUSED_PAD src0_sel:WORD_1 src1_sel:DWORD
	v_fma_f16 v10, v144, v10, -v12
	v_pack_b32_f16 v10, v11, v10
	ds_write_b32 v236, v10 offset:7776
	s_waitcnt vmcnt(1)
	v_lshrrev_b32_e32 v10, 16, v14
	v_mul_f16_sdwa v11, v142, v10 dst_sel:DWORD dst_unused:UNUSED_PAD src0_sel:WORD_1 src1_sel:DWORD
	v_mul_f16_sdwa v12, v142, v14 dst_sel:DWORD dst_unused:UNUSED_PAD src0_sel:WORD_1 src1_sel:DWORD
	v_fma_f16 v11, v142, v14, v11
	v_fma_f16 v10, v142, v10, -v12
	v_pack_b32_f16 v10, v11, v10
	ds_write2_b32 v149, v0, v10 offset1:243
	s_waitcnt vmcnt(0)
	v_lshrrev_b32_e32 v0, 16, v5
	v_mul_f16_sdwa v10, v143, v0 dst_sel:DWORD dst_unused:UNUSED_PAD src0_sel:WORD_1 src1_sel:DWORD
	v_fma_f16 v10, v143, v5, v10
	v_mul_f16_sdwa v5, v143, v5 dst_sel:DWORD dst_unused:UNUSED_PAD src0_sel:WORD_1 src1_sel:DWORD
	v_fma_f16 v0, v143, v0, -v5
	v_pack_b32_f16 v0, v10, v0
	ds_write2_b32 v2, v1, v0 offset0:11 offset1:254
	s_waitcnt lgkmcnt(0)
	s_barrier
	ds_read2_b32 v[12:13], v236 offset1:243
	ds_read2_b32 v[10:11], v179 offset0:8 offset1:251
	ds_read2_b32 v[14:15], v178 offset0:6 offset1:249
	;; [unrolled: 1-line block ×5, first 2 shown]
	s_mov_b64 s[8:9], 0xf3
	s_waitcnt lgkmcnt(5)
	v_lshrrev_b32_e32 v0, 16, v12
	s_waitcnt lgkmcnt(3)
	v_add_f16_e32 v1, v11, v14
	v_add_f16_sdwa v23, v11, v14 dst_sel:DWORD dst_unused:UNUSED_PAD src0_sel:WORD_1 src1_sel:WORD_1
	v_fma_f16 v1, v1, -0.5, v12
	v_fma_f16 v36, v23, -0.5, v0
	v_add_f16_e32 v12, v12, v11
	v_add_f16_sdwa v0, v0, v11 dst_sel:DWORD dst_unused:UNUSED_PAD src0_sel:DWORD src1_sel:WORD_1
	v_sub_f16_sdwa v5, v11, v14 dst_sel:DWORD dst_unused:UNUSED_PAD src0_sel:WORD_1 src1_sel:WORD_1
	v_sub_f16_e32 v37, v11, v14
	v_add_f16_e32 v12, v12, v14
	v_add_f16_sdwa v0, v0, v14 dst_sel:DWORD dst_unused:UNUSED_PAD src0_sel:DWORD src1_sel:WORD_1
	v_fma_f16 v22, v5, s2, v1
	v_fma_f16 v23, v37, s3, v36
	v_pack_b32_f16 v0, v12, v0
	v_mul_lo_u16_e32 v12, 3, v140
	v_pack_b32_f16 v38, v22, v23
	v_lshlrev_b32_e32 v183, 2, v12
	ds_read_b32 v11, v236 offset:25272
	ds_read2_b32 v[22:23], v170 offset0:4 offset1:247
	ds_read2_b32 v[24:25], v167 offset0:12 offset1:255
	;; [unrolled: 1-line block ×6, first 2 shown]
	ds_read2_b32 v[34:35], v149 offset1:243
	s_waitcnt lgkmcnt(0)
	s_barrier
	ds_write2_b32 v183, v0, v38 offset1:1
	v_fma_f16 v0, v5, s3, v1
	v_add_f16_e32 v5, v16, v15
	v_fma_f16 v12, v5, -0.5, v13
	v_lshrrev_b32_e32 v5, 16, v13
	v_add_f16_sdwa v14, v16, v15 dst_sel:DWORD dst_unused:UNUSED_PAD src0_sel:WORD_1 src1_sel:WORD_1
	v_fma_f16 v1, v37, s2, v36
	v_add_f16_e32 v13, v13, v16
	v_fma_f16 v14, v14, -0.5, v5
	v_add_f16_sdwa v5, v5, v16 dst_sel:DWORD dst_unused:UNUSED_PAD src0_sel:DWORD src1_sel:WORD_1
	v_add_f16_e32 v13, v13, v15
	v_add_f16_sdwa v5, v5, v15 dst_sel:DWORD dst_unused:UNUSED_PAD src0_sel:DWORD src1_sel:WORD_1
	v_sub_f16_sdwa v36, v16, v15 dst_sel:DWORD dst_unused:UNUSED_PAD src0_sel:WORD_1 src1_sel:WORD_1
	v_sub_f16_e32 v15, v16, v15
	v_pack_b32_f16 v0, v0, v1
	ds_write_b32 v183, v0 offset:8
	v_fma_f16 v0, v36, s2, v12
	v_fma_f16 v1, v15, s3, v14
	v_lshl_add_u64 v[66:67], v[140:141], 0, s[8:9]
	v_pack_b32_f16 v0, v0, v1
	v_pack_b32_f16 v1, v13, v5
	v_mul_u32_u24_e32 v13, 3, v66
	v_lshlrev_b32_e32 v184, 2, v13
	ds_write2_b32 v184, v1, v0 offset1:1
	v_fma_f16 v0, v36, s3, v12
	v_fma_f16 v1, v15, s2, v14
	v_lshrrev_b32_e32 v12, 16, v18
	v_add_f16_sdwa v13, v17, v20 dst_sel:DWORD dst_unused:UNUSED_PAD src0_sel:WORD_1 src1_sel:WORD_1
	v_fma_f16 v13, v13, -0.5, v12
	v_add_f16_sdwa v12, v12, v17 dst_sel:DWORD dst_unused:UNUSED_PAD src0_sel:DWORD src1_sel:WORD_1
	v_add_f16_e32 v14, v18, v17
	v_add_f16_e32 v15, v17, v20
	v_pack_b32_f16 v0, v0, v1
	s_mov_b64 s[8:9], 0x1e6
	v_sub_f16_sdwa v16, v17, v20 dst_sel:DWORD dst_unused:UNUSED_PAD src0_sel:WORD_1 src1_sel:WORD_1
	v_sub_f16_e32 v17, v17, v20
	ds_write_b32 v184, v0 offset:8
	v_fma_f16 v0, v15, -0.5, v18
	v_add_f16_e32 v14, v14, v20
	v_add_f16_sdwa v12, v12, v20 dst_sel:DWORD dst_unused:UNUSED_PAD src0_sel:DWORD src1_sel:WORD_1
	v_lshl_add_u64 v[84:85], v[140:141], 0, s[8:9]
	v_fma_f16 v1, v16, s2, v0
	v_fma_f16 v15, v17, s3, v13
	v_pack_b32_f16 v12, v14, v12
	v_mul_u32_u24_e32 v14, 3, v84
	v_pack_b32_f16 v1, v1, v15
	v_lshlrev_b32_e32 v185, 2, v14
	ds_write2_b32 v185, v12, v1 offset1:1
	v_fma_f16 v0, v16, s3, v0
	v_fma_f16 v1, v17, s2, v13
	v_add_f16_e32 v12, v22, v21
	v_lshrrev_b32_e32 v13, 16, v19
	v_add_f16_sdwa v15, v22, v21 dst_sel:DWORD dst_unused:UNUSED_PAD src0_sel:WORD_1 src1_sel:WORD_1
	v_fma_f16 v12, v12, -0.5, v19
	v_add_f16_e32 v14, v19, v22
	v_fma_f16 v15, v15, -0.5, v13
	v_add_f16_sdwa v13, v13, v22 dst_sel:DWORD dst_unused:UNUSED_PAD src0_sel:DWORD src1_sel:WORD_1
	v_sub_f16_sdwa v16, v22, v21 dst_sel:DWORD dst_unused:UNUSED_PAD src0_sel:WORD_1 src1_sel:WORD_1
	v_sub_f16_e32 v17, v22, v21
	v_pack_b32_f16 v0, v0, v1
	s_mov_b64 s[8:9], 0x2d9
	v_add_f16_e32 v14, v14, v21
	v_add_f16_sdwa v13, v13, v21 dst_sel:DWORD dst_unused:UNUSED_PAD src0_sel:DWORD src1_sel:WORD_1
	ds_write_b32 v185, v0 offset:8
	v_fma_f16 v0, v16, s2, v12
	v_fma_f16 v1, v17, s3, v15
	v_lshl_add_u64 v[96:97], v[140:141], 0, s[8:9]
	v_pack_b32_f16 v0, v0, v1
	v_pack_b32_f16 v1, v14, v13
	v_mul_u32_u24_e32 v13, 3, v96
	v_lshlrev_b32_e32 v186, 2, v13
	ds_write2_b32 v186, v1, v0 offset1:1
	v_fma_f16 v0, v16, s3, v12
	v_fma_f16 v1, v17, s2, v15
	v_lshrrev_b32_e32 v12, 16, v24
	v_add_f16_sdwa v13, v23, v26 dst_sel:DWORD dst_unused:UNUSED_PAD src0_sel:WORD_1 src1_sel:WORD_1
	v_fma_f16 v13, v13, -0.5, v12
	v_add_f16_sdwa v12, v12, v23 dst_sel:DWORD dst_unused:UNUSED_PAD src0_sel:DWORD src1_sel:WORD_1
	v_add_f16_e32 v14, v24, v23
	v_add_f16_e32 v15, v23, v26
	v_pack_b32_f16 v0, v0, v1
	s_mov_b64 s[8:9], 0x3cc
	v_sub_f16_sdwa v16, v23, v26 dst_sel:DWORD dst_unused:UNUSED_PAD src0_sel:WORD_1 src1_sel:WORD_1
	v_sub_f16_e32 v17, v23, v26
	ds_write_b32 v186, v0 offset:8
	v_fma_f16 v0, v15, -0.5, v24
	v_add_f16_e32 v14, v14, v26
	v_add_f16_sdwa v12, v12, v26 dst_sel:DWORD dst_unused:UNUSED_PAD src0_sel:DWORD src1_sel:WORD_1
	v_lshl_add_u64 v[102:103], v[140:141], 0, s[8:9]
	v_fma_f16 v1, v16, s2, v0
	v_fma_f16 v15, v17, s3, v13
	v_pack_b32_f16 v12, v14, v12
	v_mul_u32_u24_e32 v14, 3, v102
	v_pack_b32_f16 v1, v1, v15
	v_lshlrev_b32_e32 v187, 2, v14
	ds_write2_b32 v187, v12, v1 offset1:1
	v_fma_f16 v0, v16, s3, v0
	v_fma_f16 v1, v17, s2, v13
	v_add_f16_e32 v12, v28, v27
	v_lshrrev_b32_e32 v13, 16, v25
	v_add_f16_sdwa v15, v28, v27 dst_sel:DWORD dst_unused:UNUSED_PAD src0_sel:WORD_1 src1_sel:WORD_1
	v_fma_f16 v12, v12, -0.5, v25
	v_add_f16_e32 v14, v25, v28
	v_fma_f16 v15, v15, -0.5, v13
	v_add_f16_sdwa v13, v13, v28 dst_sel:DWORD dst_unused:UNUSED_PAD src0_sel:DWORD src1_sel:WORD_1
	v_sub_f16_sdwa v16, v28, v27 dst_sel:DWORD dst_unused:UNUSED_PAD src0_sel:WORD_1 src1_sel:WORD_1
	v_sub_f16_e32 v17, v28, v27
	v_pack_b32_f16 v0, v0, v1
	s_mov_b64 s[8:9], 0x4bf
	v_add_f16_e32 v14, v14, v27
	v_add_f16_sdwa v13, v13, v27 dst_sel:DWORD dst_unused:UNUSED_PAD src0_sel:DWORD src1_sel:WORD_1
	;; [unrolled: 48-line block ×3, first 2 shown]
	ds_write_b32 v189, v0 offset:8
	v_fma_f16 v0, v16, s2, v12
	v_fma_f16 v1, v17, s3, v15
	v_lshl_add_u64 v[124:125], v[140:141], 0, s[8:9]
	v_pack_b32_f16 v0, v0, v1
	v_pack_b32_f16 v1, v14, v13
	v_mul_u32_u24_e32 v13, 3, v124
	v_lshlrev_b32_e32 v190, 2, v13
	ds_write2_b32 v190, v1, v0 offset1:1
	v_fma_f16 v0, v16, s3, v12
	v_fma_f16 v1, v17, s2, v15
	v_add_f16_e32 v12, v35, v11
	v_lshrrev_b32_e32 v13, 16, v10
	v_add_f16_sdwa v16, v35, v11 dst_sel:DWORD dst_unused:UNUSED_PAD src0_sel:WORD_1 src1_sel:WORD_1
	s_mov_b64 s[8:9], 0x798
	v_fma_f16 v12, v12, -0.5, v10
	v_add_f16_e32 v10, v10, v35
	v_sub_f16_sdwa v14, v35, v11 dst_sel:DWORD dst_unused:UNUSED_PAD src0_sel:WORD_1 src1_sel:WORD_1
	v_add_f16_sdwa v15, v13, v35 dst_sel:DWORD dst_unused:UNUSED_PAD src0_sel:DWORD src1_sel:WORD_1
	v_sub_f16_e32 v17, v35, v11
	v_fma_f16 v13, v16, -0.5, v13
	v_pack_b32_f16 v0, v0, v1
	v_lshl_add_u64 v[126:127], v[140:141], 0, s[8:9]
	v_add_f16_e32 v10, v10, v11
	v_add_f16_sdwa v11, v15, v11 dst_sel:DWORD dst_unused:UNUSED_PAD src0_sel:DWORD src1_sel:WORD_1
	ds_write_b32 v190, v0 offset:8
	v_fma_f16 v0, v14, s2, v12
	v_fma_f16 v1, v17, s3, v13
	v_mul_u32_u24_e32 v5, 3, v126
	v_pack_b32_f16 v0, v0, v1
	v_pack_b32_f16 v1, v10, v11
	v_lshlrev_b32_e32 v191, 2, v5
	ds_write2_b32 v191, v1, v0 offset1:1
	v_fma_f16 v0, v14, s3, v12
	v_fma_f16 v1, v17, s2, v13
	v_pack_b32_f16 v0, v0, v1
	s_movk_i32 s7, 0xab
	ds_write_b32 v191, v0 offset:8
	v_mul_lo_u16_sdwa v0, v140, s7 dst_sel:DWORD dst_unused:UNUSED_PAD src0_sel:BYTE_0 src1_sel:DWORD
	v_lshrrev_b16_e32 v0, 9, v0
	v_mul_lo_u16_e32 v1, 3, v0
	v_sub_u16_e32 v1, v140, v1
	v_and_b32_e32 v1, 0xff, v1
	v_lshlrev_b32_e32 v5, 3, v1
	s_waitcnt lgkmcnt(0)
	s_barrier
	global_load_dwordx2 v[10:11], v5, s[10:11]
	s_mov_b32 s7, 0xaaab
	v_mul_u32_u24_sdwa v12, v84, s7 dst_sel:DWORD dst_unused:UNUSED_PAD src0_sel:WORD_0 src1_sel:DWORD
	v_lshrrev_b32_e32 v56, 17, v12
	v_mul_lo_u16_e32 v12, 3, v56
	v_sub_u16_e32 v57, v84, v12
	v_mul_u32_u24_sdwa v5, v66, s7 dst_sel:DWORD dst_unused:UNUSED_PAD src0_sel:WORD_0 src1_sel:DWORD
	v_lshlrev_b16_e32 v12, 1, v57
	v_lshrrev_b32_e32 v54, 17, v5
	v_lshlrev_b32_e32 v22, 2, v12
	v_mul_u32_u24_sdwa v12, v96, s7 dst_sel:DWORD dst_unused:UNUSED_PAD src0_sel:WORD_0 src1_sel:DWORD
	v_mul_lo_u16_e32 v5, 3, v54
	v_lshrrev_b32_e32 v58, 17, v12
	v_sub_u16_e32 v55, v66, v5
	v_mul_lo_u16_e32 v12, 3, v58
	v_lshlrev_b16_e32 v5, 1, v55
	v_sub_u16_e32 v59, v96, v12
	v_lshlrev_b32_e32 v5, 2, v5
	v_lshlrev_b16_e32 v12, 1, v59
	ds_read2_b32 v[16:17], v179 offset0:8 offset1:251
	v_lshlrev_b32_e32 v23, 2, v12
	ds_read2_b32 v[20:21], v178 offset0:6 offset1:249
	global_load_dwordx2 v[12:13], v5, s[10:11]
	global_load_dwordx2 v[14:15], v22, s[10:11]
	;; [unrolled: 1-line block ×3, first 2 shown]
	ds_read2_b32 v[22:23], v236 offset1:243
	s_waitcnt lgkmcnt(2)
	v_lshrrev_b32_e32 v24, 16, v17
	v_mul_u32_u24_e32 v0, 9, v0
	s_waitcnt lgkmcnt(1)
	v_lshrrev_b32_e32 v25, 16, v20
	ds_read_b32 v74, v236 offset:25272
	s_waitcnt lgkmcnt(1)
	v_lshrrev_b32_e32 v27, 16, v22
	v_accvgpr_write_b32 a3, v2
	s_mov_b64 s[8:9], 0x6684
	s_waitcnt vmcnt(3)
	v_mul_f16_sdwa v5, v17, v10 dst_sel:DWORD dst_unused:UNUSED_PAD src0_sel:DWORD src1_sel:WORD_1
	v_mul_f16_sdwa v26, v20, v11 dst_sel:DWORD dst_unused:UNUSED_PAD src0_sel:DWORD src1_sel:WORD_1
	v_fma_f16 v5, v24, v10, v5
	v_fma_f16 v26, v25, v11, v26
	v_add_f16_e32 v28, v27, v5
	v_sub_f16_e32 v60, v5, v26
	v_add_f16_e32 v5, v5, v26
	v_fma_f16 v61, v5, -0.5, v27
	v_mul_f16_sdwa v5, v24, v10 dst_sel:DWORD dst_unused:UNUSED_PAD src0_sel:DWORD src1_sel:WORD_1
	v_fma_f16 v5, v17, v10, -v5
	v_mul_f16_sdwa v17, v25, v11 dst_sel:DWORD dst_unused:UNUSED_PAD src0_sel:DWORD src1_sel:WORD_1
	v_fma_f16 v17, v20, v11, -v17
	v_add_f16_e32 v20, v22, v5
	v_add_f16_e32 v24, v5, v17
	;; [unrolled: 1-line block ×4, first 2 shown]
	v_sub_f16_e32 v17, v5, v17
	v_add_lshl_u32 v5, v0, v1, 2
	v_fma_f16 v1, v24, -0.5, v22
	v_pack_b32_f16 v0, v20, v28
	v_fma_f16 v20, v60, s2, v1
	v_fma_f16 v22, v17, s3, v61
	v_pack_b32_f16 v20, v20, v22
	v_mul_u32_u24_sdwa v22, v102, s7 dst_sel:DWORD dst_unused:UNUSED_PAD src0_sel:WORD_0 src1_sel:DWORD
	v_lshrrev_b32_e32 v22, 17, v22
	v_mul_u32_u24_sdwa v25, v120, s7 dst_sel:DWORD dst_unused:UNUSED_PAD src0_sel:WORD_0 src1_sel:DWORD
	v_mul_u32_u24_sdwa v26, v122, s7 dst_sel:DWORD dst_unused:UNUSED_PAD src0_sel:WORD_0 src1_sel:DWORD
	;; [unrolled: 1-line block ×4, first 2 shown]
	v_mul_lo_u16_e32 v24, 3, v22
	v_lshrrev_b32_e32 v63, 17, v25
	v_lshrrev_b32_e32 v65, 17, v26
	;; [unrolled: 1-line block ×4, first 2 shown]
	v_sub_u16_e32 v62, v102, v24
	v_mul_lo_u16_e32 v25, 3, v63
	v_mul_lo_u16_e32 v26, 3, v65
	;; [unrolled: 1-line block ×4, first 2 shown]
	v_lshlrev_b16_e32 v24, 1, v62
	v_sub_u16_e32 v64, v120, v25
	v_sub_u16_e32 v67, v122, v26
	;; [unrolled: 1-line block ×4, first 2 shown]
	v_lshlrev_b32_e32 v24, 2, v24
	v_lshlrev_b16_e32 v25, 1, v64
	v_lshlrev_b16_e32 v26, 1, v67
	;; [unrolled: 1-line block ×4, first 2 shown]
	v_lshlrev_b32_e32 v25, 2, v25
	v_lshlrev_b32_e32 v26, 2, v26
	;; [unrolled: 1-line block ×4, first 2 shown]
	global_load_dwordx2 v[30:31], v24, s[10:11]
	global_load_dwordx2 v[36:37], v25, s[10:11]
	;; [unrolled: 1-line block ×5, first 2 shown]
	ds_read2_b32 v[24:25], v177 offset0:6 offset1:249
	ds_read2_b32 v[26:27], v175 offset0:6 offset1:249
	;; [unrolled: 1-line block ×9, first 2 shown]
	ds_read2_b32 v[52:53], v149 offset1:243
	s_waitcnt lgkmcnt(0)
	s_barrier
	ds_write2_b32 v5, v0, v20 offset1:3
	v_lshrrev_b32_e32 v0, 16, v21
	s_waitcnt vmcnt(7)
	v_mul_f16_sdwa v20, v0, v13 dst_sel:DWORD dst_unused:UNUSED_PAD src0_sel:DWORD src1_sel:WORD_1
	v_fma_f16 v20, v21, v13, -v20
	v_mul_f16_sdwa v21, v21, v13 dst_sel:DWORD dst_unused:UNUSED_PAD src0_sel:DWORD src1_sel:WORD_1
	v_fma_f16 v0, v0, v13, v21
	v_fma_f16 v1, v60, s3, v1
	v_lshrrev_b32_e32 v21, 16, v24
	v_mul_f16_sdwa v60, v24, v12 dst_sel:DWORD dst_unused:UNUSED_PAD src0_sel:DWORD src1_sel:WORD_1
	v_fma_f16 v60, v21, v12, v60
	v_mul_f16_sdwa v21, v21, v12 dst_sel:DWORD dst_unused:UNUSED_PAD src0_sel:DWORD src1_sel:WORD_1
	v_fma_f16 v17, v17, s2, v61
	v_fma_f16 v21, v24, v12, -v21
	v_lshrrev_b32_e32 v61, 16, v23
	v_add_f16_e32 v24, v21, v20
	v_add_f16_e32 v75, v61, v60
	v_fma_f16 v24, v24, -0.5, v23
	v_add_f16_e32 v23, v23, v21
	v_add_f16_e32 v75, v75, v0
	v_sub_f16_e32 v76, v60, v0
	v_add_f16_e32 v0, v60, v0
	v_fma_f16 v0, v0, -0.5, v61
	v_add_f16_e32 v23, v23, v20
	v_sub_f16_e32 v20, v21, v20
	v_pack_b32_f16 v1, v1, v17
	ds_write_b32 v5, v1 offset:24
	v_mad_legacy_u16 v1, v54, 9, v55
	v_pack_b32_f16 v17, v23, v75
	v_fma_f16 v21, v76, s2, v24
	v_fma_f16 v23, v20, s3, v0
	v_pack_b32_f16 v21, v21, v23
	v_lshlrev_b32_e32 v192, 2, v1
	ds_write2_b32 v192, v17, v21 offset1:3
	v_lshrrev_b32_e32 v1, 16, v25
	s_waitcnt vmcnt(6)
	v_mul_f16_sdwa v21, v25, v14 dst_sel:DWORD dst_unused:UNUSED_PAD src0_sel:DWORD src1_sel:WORD_1
	v_fma_f16 v0, v20, s2, v0
	v_lshrrev_b32_e32 v20, 16, v28
	v_mul_f16_sdwa v23, v28, v15 dst_sel:DWORD dst_unused:UNUSED_PAD src0_sel:DWORD src1_sel:WORD_1
	v_mul_f16_sdwa v17, v1, v14 dst_sel:DWORD dst_unused:UNUSED_PAD src0_sel:DWORD src1_sel:WORD_1
	v_fma_f16 v1, v1, v14, v21
	v_fma_f16 v21, v76, s3, v24
	;; [unrolled: 1-line block ×3, first 2 shown]
	v_lshrrev_b32_e32 v24, 16, v26
	v_mul_f16_sdwa v20, v20, v15 dst_sel:DWORD dst_unused:UNUSED_PAD src0_sel:DWORD src1_sel:WORD_1
	v_fma_f16 v17, v25, v14, -v17
	v_add_f16_e32 v25, v24, v1
	v_sub_f16_e32 v54, v1, v23
	v_add_f16_e32 v1, v1, v23
	v_fma_f16 v20, v28, v15, -v20
	v_add_f16_e32 v25, v25, v23
	v_fma_f16 v1, v1, -0.5, v24
	v_add_f16_e32 v23, v26, v17
	v_add_f16_e32 v24, v17, v20
	;; [unrolled: 1-line block ×3, first 2 shown]
	v_sub_f16_e32 v17, v17, v20
	v_pack_b32_f16 v0, v21, v0
	v_fma_f16 v21, v24, -0.5, v26
	ds_write_b32 v192, v0 offset:24
	v_mad_legacy_u16 v0, v56, 9, v57
	v_pack_b32_f16 v20, v23, v25
	v_fma_f16 v23, v54, s2, v21
	v_fma_f16 v24, v17, s3, v1
	v_pack_b32_f16 v23, v23, v24
	v_lshlrev_b32_e32 v193, 2, v0
	ds_write2_b32 v193, v20, v23 offset1:3
	v_lshrrev_b32_e32 v0, 16, v29
	s_waitcnt vmcnt(5)
	v_mul_f16_sdwa v23, v29, v19 dst_sel:DWORD dst_unused:UNUSED_PAD src0_sel:DWORD src1_sel:WORD_1
	v_mul_f16_sdwa v20, v0, v19 dst_sel:DWORD dst_unused:UNUSED_PAD src0_sel:DWORD src1_sel:WORD_1
	v_fma_f16 v0, v0, v19, v23
	v_fma_f16 v1, v17, s2, v1
	v_lshrrev_b32_e32 v17, 16, v32
	v_mul_f16_sdwa v23, v32, v18 dst_sel:DWORD dst_unused:UNUSED_PAD src0_sel:DWORD src1_sel:WORD_1
	v_fma_f16 v23, v17, v18, v23
	v_mul_f16_sdwa v17, v17, v18 dst_sel:DWORD dst_unused:UNUSED_PAD src0_sel:DWORD src1_sel:WORD_1
	v_fma_f16 v20, v29, v19, -v20
	v_fma_f16 v17, v32, v18, -v17
	v_add_f16_e32 v24, v17, v20
	v_lshrrev_b32_e32 v25, 16, v27
	v_fma_f16 v24, v24, -0.5, v27
	v_add_f16_e32 v26, v27, v17
	v_add_f16_e32 v27, v25, v23
	v_fma_f16 v21, v54, s3, v21
	v_add_f16_e32 v27, v27, v0
	v_sub_f16_e32 v28, v23, v0
	v_add_f16_e32 v0, v23, v0
	v_fma_f16 v0, v0, -0.5, v25
	v_add_f16_e32 v23, v26, v20
	v_sub_f16_e32 v17, v17, v20
	v_pack_b32_f16 v1, v21, v1
	ds_write_b32 v193, v1 offset:24
	v_mad_legacy_u16 v1, v58, 9, v59
	v_pack_b32_f16 v20, v23, v27
	v_fma_f16 v21, v28, s2, v24
	v_fma_f16 v23, v17, s3, v0
	v_pack_b32_f16 v21, v21, v23
	v_lshlrev_b32_e32 v194, 2, v1
	ds_write2_b32 v194, v20, v21 offset1:3
	v_lshrrev_b32_e32 v1, 16, v33
	s_waitcnt vmcnt(4)
	v_mul_f16_sdwa v21, v33, v30 dst_sel:DWORD dst_unused:UNUSED_PAD src0_sel:DWORD src1_sel:WORD_1
	v_fma_f16 v0, v17, s2, v0
	v_lshrrev_b32_e32 v17, 16, v40
	v_mul_f16_sdwa v23, v40, v31 dst_sel:DWORD dst_unused:UNUSED_PAD src0_sel:DWORD src1_sel:WORD_1
	v_mul_f16_sdwa v20, v1, v30 dst_sel:DWORD dst_unused:UNUSED_PAD src0_sel:DWORD src1_sel:WORD_1
	v_fma_f16 v1, v1, v30, v21
	v_fma_f16 v21, v28, s3, v24
	;; [unrolled: 1-line block ×3, first 2 shown]
	v_lshrrev_b32_e32 v24, 16, v34
	v_mul_f16_sdwa v17, v17, v31 dst_sel:DWORD dst_unused:UNUSED_PAD src0_sel:DWORD src1_sel:WORD_1
	v_fma_f16 v20, v33, v30, -v20
	v_add_f16_e32 v25, v24, v1
	v_sub_f16_e32 v26, v1, v23
	v_add_f16_e32 v1, v1, v23
	v_fma_f16 v17, v40, v31, -v17
	v_add_f16_e32 v25, v25, v23
	v_fma_f16 v1, v1, -0.5, v24
	v_add_f16_e32 v23, v34, v20
	v_add_f16_e32 v24, v20, v17
	;; [unrolled: 1-line block ×3, first 2 shown]
	v_sub_f16_e32 v17, v20, v17
	v_pack_b32_f16 v0, v21, v0
	v_fma_f16 v21, v24, -0.5, v34
	ds_write_b32 v194, v0 offset:24
	v_mad_legacy_u16 v0, v22, 9, v62
	v_pack_b32_f16 v20, v23, v25
	v_fma_f16 v22, v26, s2, v21
	v_fma_f16 v23, v17, s3, v1
	v_pack_b32_f16 v22, v22, v23
	v_lshlrev_b32_e32 v195, 2, v0
	ds_write2_b32 v195, v20, v22 offset1:3
	v_lshrrev_b32_e32 v0, 16, v41
	s_waitcnt vmcnt(3)
	v_mul_f16_sdwa v22, v41, v37 dst_sel:DWORD dst_unused:UNUSED_PAD src0_sel:DWORD src1_sel:WORD_1
	v_mul_f16_sdwa v20, v0, v37 dst_sel:DWORD dst_unused:UNUSED_PAD src0_sel:DWORD src1_sel:WORD_1
	v_fma_f16 v0, v0, v37, v22
	v_fma_f16 v1, v17, s2, v1
	v_lshrrev_b32_e32 v17, 16, v42
	v_mul_f16_sdwa v22, v42, v36 dst_sel:DWORD dst_unused:UNUSED_PAD src0_sel:DWORD src1_sel:WORD_1
	v_fma_f16 v22, v17, v36, v22
	v_mul_f16_sdwa v17, v17, v36 dst_sel:DWORD dst_unused:UNUSED_PAD src0_sel:DWORD src1_sel:WORD_1
	v_lshrrev_b32_e32 v24, 16, v35
	v_fma_f16 v20, v41, v37, -v20
	v_fma_f16 v21, v26, s3, v21
	v_fma_f16 v17, v42, v36, -v17
	v_add_f16_e32 v26, v24, v22
	v_add_f16_e32 v23, v17, v20
	v_add_f16_e32 v25, v35, v17
	v_add_f16_e32 v26, v26, v0
	v_sub_f16_e32 v27, v22, v0
	v_add_f16_e32 v0, v22, v0
	v_fma_f16 v23, v23, -0.5, v35
	v_fma_f16 v0, v0, -0.5, v24
	v_add_f16_e32 v22, v25, v20
	v_sub_f16_e32 v17, v17, v20
	v_pack_b32_f16 v1, v21, v1
	ds_write_b32 v195, v1 offset:24
	v_mad_legacy_u16 v1, v63, 9, v64
	v_pack_b32_f16 v20, v22, v26
	v_fma_f16 v21, v27, s2, v23
	v_fma_f16 v22, v17, s3, v0
	v_pack_b32_f16 v21, v21, v22
	v_lshlrev_b32_e32 v197, 2, v1
	ds_write2_b32 v197, v20, v21 offset1:3
	v_lshrrev_b32_e32 v1, 16, v43
	s_waitcnt vmcnt(2)
	v_mul_f16_sdwa v21, v43, v38 dst_sel:DWORD dst_unused:UNUSED_PAD src0_sel:DWORD src1_sel:WORD_1
	v_fma_f16 v0, v17, s2, v0
	v_lshrrev_b32_e32 v17, 16, v50
	v_mul_f16_sdwa v22, v50, v39 dst_sel:DWORD dst_unused:UNUSED_PAD src0_sel:DWORD src1_sel:WORD_1
	v_mul_f16_sdwa v20, v1, v38 dst_sel:DWORD dst_unused:UNUSED_PAD src0_sel:DWORD src1_sel:WORD_1
	v_fma_f16 v1, v1, v38, v21
	v_fma_f16 v21, v27, s3, v23
	;; [unrolled: 1-line block ×3, first 2 shown]
	v_lshrrev_b32_e32 v23, 16, v46
	v_mul_f16_sdwa v17, v17, v39 dst_sel:DWORD dst_unused:UNUSED_PAD src0_sel:DWORD src1_sel:WORD_1
	v_fma_f16 v20, v43, v38, -v20
	v_add_f16_e32 v24, v23, v1
	v_sub_f16_e32 v25, v1, v22
	v_add_f16_e32 v1, v1, v22
	v_fma_f16 v17, v50, v39, -v17
	v_add_f16_e32 v24, v24, v22
	v_fma_f16 v1, v1, -0.5, v23
	v_add_f16_e32 v22, v46, v20
	v_add_f16_e32 v23, v20, v17
	;; [unrolled: 1-line block ×3, first 2 shown]
	v_sub_f16_e32 v17, v20, v17
	v_pack_b32_f16 v0, v21, v0
	v_fma_f16 v21, v23, -0.5, v46
	ds_write_b32 v197, v0 offset:24
	v_mad_legacy_u16 v0, v65, 9, v67
	v_pack_b32_f16 v20, v22, v24
	v_fma_f16 v22, v25, s2, v21
	v_fma_f16 v23, v17, s3, v1
	v_pack_b32_f16 v22, v22, v23
	v_lshlrev_b32_e32 v198, 2, v0
	ds_write2_b32 v198, v20, v22 offset1:3
	v_lshrrev_b32_e32 v0, 16, v51
	s_waitcnt vmcnt(1)
	v_mul_f16_sdwa v22, v51, v45 dst_sel:DWORD dst_unused:UNUSED_PAD src0_sel:DWORD src1_sel:WORD_1
	v_mul_f16_sdwa v20, v0, v45 dst_sel:DWORD dst_unused:UNUSED_PAD src0_sel:DWORD src1_sel:WORD_1
	v_fma_f16 v0, v0, v45, v22
	v_fma_f16 v1, v17, s2, v1
	v_lshrrev_b32_e32 v17, 16, v52
	v_mul_f16_sdwa v22, v52, v44 dst_sel:DWORD dst_unused:UNUSED_PAD src0_sel:DWORD src1_sel:WORD_1
	v_fma_f16 v22, v17, v44, v22
	v_mul_f16_sdwa v17, v17, v44 dst_sel:DWORD dst_unused:UNUSED_PAD src0_sel:DWORD src1_sel:WORD_1
	v_lshrrev_b32_e32 v24, 16, v47
	v_fma_f16 v20, v51, v45, -v20
	v_fma_f16 v17, v52, v44, -v17
	v_add_f16_e32 v26, v24, v22
	v_fma_f16 v21, v25, s3, v21
	v_add_f16_e32 v23, v17, v20
	v_add_f16_e32 v25, v47, v17
	;; [unrolled: 1-line block ×3, first 2 shown]
	v_sub_f16_e32 v27, v22, v0
	v_add_f16_e32 v0, v22, v0
	v_fma_f16 v23, v23, -0.5, v47
	v_fma_f16 v0, v0, -0.5, v24
	v_add_f16_e32 v22, v25, v20
	v_sub_f16_e32 v17, v17, v20
	v_pack_b32_f16 v1, v21, v1
	ds_write_b32 v198, v1 offset:24
	v_mad_legacy_u16 v1, v70, 9, v71
	v_pack_b32_f16 v20, v22, v26
	v_fma_f16 v21, v27, s2, v23
	v_fma_f16 v22, v17, s3, v0
	v_pack_b32_f16 v21, v21, v22
	v_lshlrev_b32_e32 v199, 2, v1
	ds_write2_b32 v199, v20, v21 offset1:3
	v_lshrrev_b32_e32 v1, 16, v53
	s_waitcnt vmcnt(0)
	v_mul_f16_sdwa v21, v53, v48 dst_sel:DWORD dst_unused:UNUSED_PAD src0_sel:DWORD src1_sel:WORD_1
	v_mul_f16_sdwa v20, v1, v48 dst_sel:DWORD dst_unused:UNUSED_PAD src0_sel:DWORD src1_sel:WORD_1
	v_fma_f16 v1, v1, v48, v21
	v_lshrrev_b32_e32 v21, 16, v74
	v_mul_f16_sdwa v22, v21, v49 dst_sel:DWORD dst_unused:UNUSED_PAD src0_sel:DWORD src1_sel:WORD_1
	v_mul_f16_sdwa v24, v74, v49 dst_sel:DWORD dst_unused:UNUSED_PAD src0_sel:DWORD src1_sel:WORD_1
	v_fma_f16 v20, v53, v48, -v20
	v_fma_f16 v22, v74, v49, -v22
	v_fma_f16 v21, v21, v49, v24
	v_fma_f16 v23, v27, s3, v23
	;; [unrolled: 1-line block ×3, first 2 shown]
	v_lshrrev_b32_e32 v24, 16, v16
	v_add_f16_e32 v17, v20, v22
	v_add_f16_e32 v25, v24, v1
	v_sub_f16_e32 v26, v1, v21
	v_add_f16_e32 v1, v1, v21
	v_pack_b32_f16 v0, v23, v0
	v_fma_f16 v17, v17, -0.5, v16
	v_add_f16_e32 v16, v16, v20
	v_fma_f16 v1, v1, -0.5, v24
	v_sub_f16_e32 v20, v20, v22
	ds_write_b32 v199, v0 offset:24
	v_mad_legacy_u16 v0, v72, 9, v73
	v_add_f16_e32 v25, v25, v21
	v_add_f16_e32 v16, v16, v22
	v_fma_f16 v21, v26, s2, v17
	v_fma_f16 v22, v20, s3, v1
	v_lshlrev_b32_e32 v200, 2, v0
	v_fma_f16 v0, v26, s3, v17
	v_fma_f16 v1, v20, s2, v1
	v_pack_b32_f16 v16, v16, v25
	v_pack_b32_f16 v21, v21, v22
	;; [unrolled: 1-line block ×3, first 2 shown]
	s_mov_b32 s7, 0xe38f
	ds_write2_b32 v200, v16, v21 offset1:3
	ds_write_b32 v200, v0 offset:24
	v_mov_b32_e32 v0, 57
	v_mul_u32_u24_sdwa v16, v84, s7 dst_sel:DWORD dst_unused:UNUSED_PAD src0_sel:WORD_0 src1_sel:DWORD
	v_mul_u32_u24_sdwa v20, v96, s7 dst_sel:DWORD dst_unused:UNUSED_PAD src0_sel:WORD_0 src1_sel:DWORD
	v_mul_lo_u16_sdwa v0, v140, v0 dst_sel:DWORD dst_unused:UNUSED_PAD src0_sel:BYTE_0 src1_sel:DWORD
	v_lshrrev_b32_e32 v67, 19, v16
	v_lshrrev_b32_e32 v77, 19, v20
	v_lshrrev_b16_e32 v0, 9, v0
	v_mul_lo_u16_e32 v16, 9, v67
	v_mul_lo_u16_e32 v20, 9, v77
	;; [unrolled: 1-line block ×3, first 2 shown]
	v_sub_u16_e32 v76, v84, v16
	v_sub_u16_e32 v78, v96, v20
	;; [unrolled: 1-line block ×3, first 2 shown]
	v_lshlrev_b16_e32 v16, 3, v76
	v_mov_b32_e32 v17, v237
	v_lshlrev_b16_e32 v20, 3, v78
	v_mov_b32_e32 v21, v237
	v_and_b32_e32 v1, 0xff, v1
	v_lshl_add_u64 v[16:17], s[10:11], 0, v[16:17]
	v_lshl_add_u64 v[20:21], s[10:11], 0, v[20:21]
	s_waitcnt lgkmcnt(0)
	s_barrier
	global_load_dwordx2 v[16:17], v[16:17], off offset:24
	s_nop 0
	global_load_dwordx2 v[22:23], v[20:21], off offset:24
	v_lshlrev_b32_e32 v20, 3, v1
	global_load_dwordx2 v[20:21], v20, s[10:11] offset:24
	v_mul_u32_u24_sdwa v24, v66, s7 dst_sel:DWORD dst_unused:UNUSED_PAD src0_sel:WORD_0 src1_sel:DWORD
	v_lshrrev_b32_e32 v79, 19, v24
	v_mul_lo_u16_e32 v24, 9, v79
	v_sub_u16_e32 v80, v66, v24
	v_lshlrev_b16_e32 v24, 3, v80
	v_mov_b32_e32 v25, v237
	v_lshl_add_u64 v[24:25], s[10:11], 0, v[24:25]
	global_load_dwordx2 v[24:25], v[24:25], off offset:24
	ds_read2_b32 v[26:27], v179 offset0:8 offset1:251
	ds_read2_b32 v[32:33], v178 offset0:6 offset1:249
	ds_read2_b32 v[28:29], v236 offset1:243
	v_mul_u32_u24_e32 v0, 27, v0
	v_add_lshl_u32 v196, v0, v1, 2
	s_waitcnt lgkmcnt(2)
	v_lshrrev_b32_e32 v34, 16, v27
	s_waitcnt lgkmcnt(1)
	v_lshrrev_b32_e32 v40, 16, v32
	s_waitcnt lgkmcnt(0)
	v_lshrrev_b32_e32 v42, 16, v28
	v_mul_u32_u24_sdwa v46, v124, s7 dst_sel:DWORD dst_unused:UNUSED_PAD src0_sel:WORD_0 src1_sel:DWORD
	v_lshrrev_b32_e32 v89, 19, v46
	v_mul_lo_u16_e32 v46, 9, v89
	v_sub_u16_e32 v90, v124, v46
	v_lshlrev_b16_e32 v46, 3, v90
	v_mov_b32_e32 v47, v237
	v_lshl_add_u64 v[46:47], s[10:11], 0, v[46:47]
	s_waitcnt vmcnt(1)
	v_mul_f16_sdwa v35, v27, v20 dst_sel:DWORD dst_unused:UNUSED_PAD src0_sel:DWORD src1_sel:WORD_1
	v_fma_f16 v35, v34, v20, v35
	v_mul_f16_sdwa v41, v32, v21 dst_sel:DWORD dst_unused:UNUSED_PAD src0_sel:DWORD src1_sel:WORD_1
	v_mul_f16_sdwa v34, v34, v20 dst_sel:DWORD dst_unused:UNUSED_PAD src0_sel:DWORD src1_sel:WORD_1
	v_fma_f16 v41, v40, v21, v41
	v_fma_f16 v27, v27, v20, -v34
	v_mul_f16_sdwa v34, v40, v21 dst_sel:DWORD dst_unused:UNUSED_PAD src0_sel:DWORD src1_sel:WORD_1
	v_add_f16_e32 v43, v42, v35
	v_sub_f16_e32 v81, v35, v41
	v_add_f16_e32 v35, v35, v41
	v_fma_f16 v32, v32, v21, -v34
	v_fma_f16 v82, v35, -0.5, v42
	v_add_f16_e32 v35, v27, v32
	v_add_f16_e32 v34, v28, v27
	v_sub_f16_e32 v27, v27, v32
	v_fma_f16 v1, v35, -0.5, v28
	v_add_f16_e32 v34, v34, v32
	v_fma_f16 v28, v81, s2, v1
	v_fma_f16 v32, v27, s3, v82
	v_pack_b32_f16 v28, v28, v32
	v_mul_u32_u24_sdwa v32, v102, s7 dst_sel:DWORD dst_unused:UNUSED_PAD src0_sel:WORD_0 src1_sel:DWORD
	v_add_f16_e32 v43, v43, v41
	v_lshrrev_b32_e32 v32, 19, v32
	v_mul_u32_u24_sdwa v40, v120, s7 dst_sel:DWORD dst_unused:UNUSED_PAD src0_sel:WORD_0 src1_sel:DWORD
	v_mul_u32_u24_sdwa v42, v122, s7 dst_sel:DWORD dst_unused:UNUSED_PAD src0_sel:WORD_0 src1_sel:DWORD
	v_pack_b32_f16 v0, v34, v43
	v_mul_lo_u16_e32 v34, 9, v32
	v_lshrrev_b32_e32 v85, 19, v40
	v_lshrrev_b32_e32 v87, 19, v42
	v_sub_u16_e32 v83, v102, v34
	v_mul_lo_u16_e32 v40, 9, v85
	v_mul_lo_u16_e32 v42, 9, v87
	v_lshlrev_b16_e32 v34, 3, v83
	v_mov_b32_e32 v35, v237
	v_sub_u16_e32 v86, v120, v40
	v_sub_u16_e32 v88, v122, v42
	v_lshl_add_u64 v[34:35], s[10:11], 0, v[34:35]
	v_lshlrev_b16_e32 v40, 3, v86
	v_mov_b32_e32 v41, v237
	v_lshlrev_b16_e32 v42, 3, v88
	v_mov_b32_e32 v43, v237
	v_lshl_add_u64 v[40:41], s[10:11], 0, v[40:41]
	v_lshl_add_u64 v[42:43], s[10:11], 0, v[42:43]
	global_load_dwordx2 v[52:53], v[34:35], off offset:24
	global_load_dwordx2 v[54:55], v[40:41], off offset:24
	;; [unrolled: 1-line block ×4, first 2 shown]
	v_mul_u32_u24_sdwa v34, v126, s7 dst_sel:DWORD dst_unused:UNUSED_PAD src0_sel:WORD_0 src1_sel:DWORD
	v_lshrrev_b32_e32 v91, 19, v34
	v_mul_lo_u16_e32 v34, 9, v91
	v_sub_u16_e32 v92, v126, v34
	v_lshlrev_b16_e32 v34, 3, v92
	v_mov_b32_e32 v35, v237
	v_lshl_add_u64 v[34:35], s[10:11], 0, v[34:35]
	global_load_dwordx2 v[60:61], v[34:35], off offset:24
	ds_read_b32 v93, v236 offset:25272
	ds_read2_b32 v[34:35], v177 offset0:6 offset1:249
	ds_read2_b32 v[40:41], v175 offset0:6 offset1:249
	ds_read2_b32 v[42:43], v176 offset0:12 offset1:255
	ds_read2_b32 v[46:47], v170 offset0:4 offset1:247
	ds_read2_b32 v[50:51], v167 offset0:12 offset1:255
	ds_read2_b32 v[62:63], v164 offset0:2 offset1:245
	ds_read2_b32 v[64:65], v158 offset0:10 offset1:253
	ds_read2_b32 v[70:71], v155 offset0:2 offset1:245
	ds_read2_b32 v[72:73], v152 offset0:8 offset1:251
	ds_read2_b32 v[74:75], v149 offset1:243
	s_waitcnt lgkmcnt(0)
	s_barrier
	ds_write2_b32 v196, v0, v28 offset1:9
	v_lshrrev_b32_e32 v0, 16, v33
	s_waitcnt vmcnt(5)
	v_mul_f16_sdwa v28, v0, v25 dst_sel:DWORD dst_unused:UNUSED_PAD src0_sel:DWORD src1_sel:WORD_1
	v_fma_f16 v28, v33, v25, -v28
	v_mul_f16_sdwa v33, v33, v25 dst_sel:DWORD dst_unused:UNUSED_PAD src0_sel:DWORD src1_sel:WORD_1
	v_fma_f16 v0, v0, v25, v33
	v_fma_f16 v1, v81, s3, v1
	v_lshrrev_b32_e32 v33, 16, v34
	v_mul_f16_sdwa v81, v34, v24 dst_sel:DWORD dst_unused:UNUSED_PAD src0_sel:DWORD src1_sel:WORD_1
	v_fma_f16 v81, v33, v24, v81
	v_mul_f16_sdwa v33, v33, v24 dst_sel:DWORD dst_unused:UNUSED_PAD src0_sel:DWORD src1_sel:WORD_1
	v_fma_f16 v27, v27, s2, v82
	v_fma_f16 v33, v34, v24, -v33
	v_lshrrev_b32_e32 v82, 16, v29
	v_add_f16_e32 v34, v33, v28
	v_add_f16_e32 v94, v82, v81
	v_fma_f16 v34, v34, -0.5, v29
	v_add_f16_e32 v29, v29, v33
	v_add_f16_e32 v94, v94, v0
	v_sub_f16_e32 v95, v81, v0
	v_add_f16_e32 v0, v81, v0
	v_fma_f16 v0, v0, -0.5, v82
	v_add_f16_e32 v29, v29, v28
	v_sub_f16_e32 v28, v33, v28
	v_pack_b32_f16 v1, v1, v27
	ds_write_b32 v196, v1 offset:72
	v_mad_legacy_u16 v1, v79, 27, v80
	v_pack_b32_f16 v27, v29, v94
	v_fma_f16 v29, v95, s2, v34
	v_fma_f16 v33, v28, s3, v0
	v_pack_b32_f16 v29, v29, v33
	v_lshlrev_b32_e32 v201, 2, v1
	ds_write2_b32 v201, v27, v29 offset1:9
	v_lshrrev_b32_e32 v1, 16, v35
	v_mul_f16_sdwa v29, v35, v16 dst_sel:DWORD dst_unused:UNUSED_PAD src0_sel:DWORD src1_sel:WORD_1
	v_fma_f16 v0, v28, s2, v0
	v_lshrrev_b32_e32 v28, 16, v42
	v_mul_f16_sdwa v33, v42, v17 dst_sel:DWORD dst_unused:UNUSED_PAD src0_sel:DWORD src1_sel:WORD_1
	v_mul_f16_sdwa v27, v1, v16 dst_sel:DWORD dst_unused:UNUSED_PAD src0_sel:DWORD src1_sel:WORD_1
	v_fma_f16 v1, v1, v16, v29
	v_fma_f16 v29, v95, s3, v34
	;; [unrolled: 1-line block ×3, first 2 shown]
	v_lshrrev_b32_e32 v34, 16, v40
	v_mul_f16_sdwa v28, v28, v17 dst_sel:DWORD dst_unused:UNUSED_PAD src0_sel:DWORD src1_sel:WORD_1
	v_fma_f16 v27, v35, v16, -v27
	v_add_f16_e32 v35, v34, v1
	v_sub_f16_e32 v79, v1, v33
	v_add_f16_e32 v1, v1, v33
	v_fma_f16 v28, v42, v17, -v28
	v_add_f16_e32 v35, v35, v33
	v_fma_f16 v1, v1, -0.5, v34
	v_add_f16_e32 v33, v40, v27
	v_add_f16_e32 v34, v27, v28
	;; [unrolled: 1-line block ×3, first 2 shown]
	v_sub_f16_e32 v27, v27, v28
	v_pack_b32_f16 v0, v29, v0
	v_fma_f16 v29, v34, -0.5, v40
	ds_write_b32 v201, v0 offset:72
	v_mad_legacy_u16 v0, v67, 27, v76
	v_pack_b32_f16 v28, v33, v35
	v_fma_f16 v33, v79, s2, v29
	v_fma_f16 v34, v27, s3, v1
	v_pack_b32_f16 v33, v33, v34
	v_lshlrev_b32_e32 v202, 2, v0
	ds_write2_b32 v202, v28, v33 offset1:9
	v_lshrrev_b32_e32 v0, 16, v43
	v_mul_f16_sdwa v33, v43, v23 dst_sel:DWORD dst_unused:UNUSED_PAD src0_sel:DWORD src1_sel:WORD_1
	v_mul_f16_sdwa v28, v0, v23 dst_sel:DWORD dst_unused:UNUSED_PAD src0_sel:DWORD src1_sel:WORD_1
	v_fma_f16 v0, v0, v23, v33
	v_fma_f16 v1, v27, s2, v1
	v_lshrrev_b32_e32 v27, 16, v46
	v_mul_f16_sdwa v33, v46, v22 dst_sel:DWORD dst_unused:UNUSED_PAD src0_sel:DWORD src1_sel:WORD_1
	v_fma_f16 v33, v27, v22, v33
	v_mul_f16_sdwa v27, v27, v22 dst_sel:DWORD dst_unused:UNUSED_PAD src0_sel:DWORD src1_sel:WORD_1
	v_fma_f16 v28, v43, v23, -v28
	v_fma_f16 v27, v46, v22, -v27
	v_add_f16_e32 v34, v27, v28
	v_lshrrev_b32_e32 v35, 16, v41
	v_fma_f16 v34, v34, -0.5, v41
	v_add_f16_e32 v40, v41, v27
	v_add_f16_e32 v41, v35, v33
	v_fma_f16 v29, v79, s3, v29
	v_add_f16_e32 v41, v41, v0
	v_sub_f16_e32 v42, v33, v0
	v_add_f16_e32 v0, v33, v0
	v_fma_f16 v0, v0, -0.5, v35
	v_add_f16_e32 v33, v40, v28
	v_sub_f16_e32 v27, v27, v28
	v_pack_b32_f16 v1, v29, v1
	ds_write_b32 v202, v1 offset:72
	v_mad_legacy_u16 v1, v77, 27, v78
	v_pack_b32_f16 v28, v33, v41
	v_fma_f16 v29, v42, s2, v34
	v_fma_f16 v33, v27, s3, v0
	v_pack_b32_f16 v29, v29, v33
	v_lshlrev_b32_e32 v203, 2, v1
	ds_write2_b32 v203, v28, v29 offset1:9
	v_lshrrev_b32_e32 v1, 16, v47
	s_waitcnt vmcnt(4)
	v_mul_f16_sdwa v29, v47, v52 dst_sel:DWORD dst_unused:UNUSED_PAD src0_sel:DWORD src1_sel:WORD_1
	v_fma_f16 v0, v27, s2, v0
	v_lshrrev_b32_e32 v27, 16, v62
	v_mul_f16_sdwa v33, v62, v53 dst_sel:DWORD dst_unused:UNUSED_PAD src0_sel:DWORD src1_sel:WORD_1
	v_mul_f16_sdwa v28, v1, v52 dst_sel:DWORD dst_unused:UNUSED_PAD src0_sel:DWORD src1_sel:WORD_1
	v_fma_f16 v1, v1, v52, v29
	v_fma_f16 v29, v42, s3, v34
	;; [unrolled: 1-line block ×3, first 2 shown]
	v_lshrrev_b32_e32 v34, 16, v50
	v_mul_f16_sdwa v27, v27, v53 dst_sel:DWORD dst_unused:UNUSED_PAD src0_sel:DWORD src1_sel:WORD_1
	v_fma_f16 v28, v47, v52, -v28
	v_add_f16_e32 v35, v34, v1
	v_sub_f16_e32 v40, v1, v33
	v_add_f16_e32 v1, v1, v33
	v_fma_f16 v27, v62, v53, -v27
	v_add_f16_e32 v35, v35, v33
	v_fma_f16 v1, v1, -0.5, v34
	v_add_f16_e32 v33, v50, v28
	v_add_f16_e32 v34, v28, v27
	;; [unrolled: 1-line block ×3, first 2 shown]
	v_sub_f16_e32 v27, v28, v27
	v_pack_b32_f16 v0, v29, v0
	v_fma_f16 v29, v34, -0.5, v50
	ds_write_b32 v203, v0 offset:72
	v_mad_legacy_u16 v0, v32, 27, v83
	v_pack_b32_f16 v28, v33, v35
	v_fma_f16 v32, v40, s2, v29
	v_fma_f16 v33, v27, s3, v1
	v_pack_b32_f16 v32, v32, v33
	v_lshlrev_b32_e32 v204, 2, v0
	ds_write2_b32 v204, v28, v32 offset1:9
	v_lshrrev_b32_e32 v0, 16, v63
	s_waitcnt vmcnt(3)
	v_mul_f16_sdwa v32, v63, v55 dst_sel:DWORD dst_unused:UNUSED_PAD src0_sel:DWORD src1_sel:WORD_1
	v_mul_f16_sdwa v28, v0, v55 dst_sel:DWORD dst_unused:UNUSED_PAD src0_sel:DWORD src1_sel:WORD_1
	v_fma_f16 v0, v0, v55, v32
	v_fma_f16 v1, v27, s2, v1
	v_lshrrev_b32_e32 v27, 16, v64
	v_mul_f16_sdwa v32, v64, v54 dst_sel:DWORD dst_unused:UNUSED_PAD src0_sel:DWORD src1_sel:WORD_1
	v_fma_f16 v32, v27, v54, v32
	v_mul_f16_sdwa v27, v27, v54 dst_sel:DWORD dst_unused:UNUSED_PAD src0_sel:DWORD src1_sel:WORD_1
	v_lshrrev_b32_e32 v34, 16, v51
	v_fma_f16 v28, v63, v55, -v28
	v_fma_f16 v29, v40, s3, v29
	v_fma_f16 v27, v64, v54, -v27
	v_add_f16_e32 v40, v34, v32
	v_add_f16_e32 v33, v27, v28
	;; [unrolled: 1-line block ×4, first 2 shown]
	v_sub_f16_e32 v41, v32, v0
	v_add_f16_e32 v0, v32, v0
	v_fma_f16 v33, v33, -0.5, v51
	v_fma_f16 v0, v0, -0.5, v34
	v_add_f16_e32 v32, v35, v28
	v_sub_f16_e32 v27, v27, v28
	v_pack_b32_f16 v1, v29, v1
	ds_write_b32 v204, v1 offset:72
	v_mad_legacy_u16 v1, v85, 27, v86
	v_pack_b32_f16 v28, v32, v40
	v_fma_f16 v29, v41, s2, v33
	v_fma_f16 v32, v27, s3, v0
	v_pack_b32_f16 v29, v29, v32
	v_lshlrev_b32_e32 v205, 2, v1
	ds_write2_b32 v205, v28, v29 offset1:9
	v_lshrrev_b32_e32 v1, 16, v65
	s_waitcnt vmcnt(2)
	v_mul_f16_sdwa v29, v65, v56 dst_sel:DWORD dst_unused:UNUSED_PAD src0_sel:DWORD src1_sel:WORD_1
	v_fma_f16 v0, v27, s2, v0
	v_lshrrev_b32_e32 v27, 16, v72
	v_mul_f16_sdwa v32, v72, v57 dst_sel:DWORD dst_unused:UNUSED_PAD src0_sel:DWORD src1_sel:WORD_1
	v_mul_f16_sdwa v28, v1, v56 dst_sel:DWORD dst_unused:UNUSED_PAD src0_sel:DWORD src1_sel:WORD_1
	v_fma_f16 v1, v1, v56, v29
	v_fma_f16 v29, v41, s3, v33
	;; [unrolled: 1-line block ×3, first 2 shown]
	v_lshrrev_b32_e32 v33, 16, v70
	v_mul_f16_sdwa v27, v27, v57 dst_sel:DWORD dst_unused:UNUSED_PAD src0_sel:DWORD src1_sel:WORD_1
	v_fma_f16 v28, v65, v56, -v28
	v_add_f16_e32 v34, v33, v1
	v_sub_f16_e32 v35, v1, v32
	v_add_f16_e32 v1, v1, v32
	v_fma_f16 v27, v72, v57, -v27
	v_add_f16_e32 v34, v34, v32
	v_fma_f16 v1, v1, -0.5, v33
	v_add_f16_e32 v32, v70, v28
	v_add_f16_e32 v33, v28, v27
	;; [unrolled: 1-line block ×3, first 2 shown]
	v_sub_f16_e32 v27, v28, v27
	v_pack_b32_f16 v0, v29, v0
	v_fma_f16 v29, v33, -0.5, v70
	ds_write_b32 v205, v0 offset:72
	v_mad_legacy_u16 v0, v87, 27, v88
	v_pack_b32_f16 v28, v32, v34
	v_fma_f16 v32, v35, s2, v29
	v_fma_f16 v33, v27, s3, v1
	v_pack_b32_f16 v32, v32, v33
	v_lshlrev_b32_e32 v206, 2, v0
	ds_write2_b32 v206, v28, v32 offset1:9
	v_lshrrev_b32_e32 v0, 16, v73
	s_waitcnt vmcnt(1)
	v_mul_f16_sdwa v32, v73, v59 dst_sel:DWORD dst_unused:UNUSED_PAD src0_sel:DWORD src1_sel:WORD_1
	v_mul_f16_sdwa v28, v0, v59 dst_sel:DWORD dst_unused:UNUSED_PAD src0_sel:DWORD src1_sel:WORD_1
	v_fma_f16 v0, v0, v59, v32
	v_fma_f16 v1, v27, s2, v1
	v_lshrrev_b32_e32 v27, 16, v74
	v_mul_f16_sdwa v32, v74, v58 dst_sel:DWORD dst_unused:UNUSED_PAD src0_sel:DWORD src1_sel:WORD_1
	v_fma_f16 v32, v27, v58, v32
	v_mul_f16_sdwa v27, v27, v58 dst_sel:DWORD dst_unused:UNUSED_PAD src0_sel:DWORD src1_sel:WORD_1
	v_lshrrev_b32_e32 v34, 16, v71
	v_fma_f16 v28, v73, v59, -v28
	v_fma_f16 v27, v74, v58, -v27
	v_add_f16_e32 v40, v34, v32
	v_fma_f16 v29, v35, s3, v29
	v_add_f16_e32 v33, v27, v28
	v_add_f16_e32 v35, v71, v27
	;; [unrolled: 1-line block ×3, first 2 shown]
	v_sub_f16_e32 v41, v32, v0
	v_add_f16_e32 v0, v32, v0
	v_fma_f16 v33, v33, -0.5, v71
	v_fma_f16 v0, v0, -0.5, v34
	v_add_f16_e32 v32, v35, v28
	v_sub_f16_e32 v27, v27, v28
	v_pack_b32_f16 v1, v29, v1
	ds_write_b32 v206, v1 offset:72
	v_mad_legacy_u16 v1, v89, 27, v90
	v_pack_b32_f16 v28, v32, v40
	v_fma_f16 v29, v41, s2, v33
	v_fma_f16 v32, v27, s3, v0
	v_pack_b32_f16 v29, v29, v32
	v_lshlrev_b32_e32 v207, 2, v1
	ds_write2_b32 v207, v28, v29 offset1:9
	v_lshrrev_b32_e32 v1, 16, v75
	s_waitcnt vmcnt(0)
	v_mul_f16_sdwa v29, v75, v60 dst_sel:DWORD dst_unused:UNUSED_PAD src0_sel:DWORD src1_sel:WORD_1
	v_mul_f16_sdwa v28, v1, v60 dst_sel:DWORD dst_unused:UNUSED_PAD src0_sel:DWORD src1_sel:WORD_1
	v_fma_f16 v1, v1, v60, v29
	v_lshrrev_b32_e32 v29, 16, v93
	v_mul_f16_sdwa v32, v29, v61 dst_sel:DWORD dst_unused:UNUSED_PAD src0_sel:DWORD src1_sel:WORD_1
	v_mul_f16_sdwa v34, v93, v61 dst_sel:DWORD dst_unused:UNUSED_PAD src0_sel:DWORD src1_sel:WORD_1
	v_fma_f16 v28, v75, v60, -v28
	v_fma_f16 v32, v93, v61, -v32
	v_fma_f16 v29, v29, v61, v34
	v_fma_f16 v33, v41, s3, v33
	;; [unrolled: 1-line block ×3, first 2 shown]
	v_lshrrev_b32_e32 v34, 16, v26
	v_add_f16_e32 v27, v28, v32
	v_add_f16_e32 v35, v34, v1
	v_sub_f16_e32 v40, v1, v29
	v_add_f16_e32 v1, v1, v29
	v_pack_b32_f16 v0, v33, v0
	v_fma_f16 v27, v27, -0.5, v26
	v_add_f16_e32 v26, v26, v28
	v_fma_f16 v1, v1, -0.5, v34
	v_sub_f16_e32 v28, v28, v32
	ds_write_b32 v207, v0 offset:72
	v_mad_legacy_u16 v0, v91, 27, v92
	v_add_f16_e32 v26, v26, v32
	v_fma_f16 v32, v28, s3, v1
	v_lshlrev_b32_e32 v208, 2, v0
	v_fma_f16 v0, v40, s3, v27
	v_fma_f16 v1, v28, s2, v1
	v_pack_b32_f16 v0, v0, v1
	s_movk_i32 s7, 0x2f69
	ds_write_b32 v208, v0 offset:72
	v_mul_u32_u24_sdwa v0, v84, s7 dst_sel:DWORD dst_unused:UNUSED_PAD src0_sel:WORD_0 src1_sel:DWORD
	v_sub_u16_sdwa v1, v84, v0 dst_sel:DWORD dst_unused:UNUSED_PAD src0_sel:DWORD src1_sel:WORD_1
	v_add_f16_e32 v35, v35, v29
	v_fma_f16 v29, v40, s2, v27
	v_lshrrev_b16_e32 v1, 1, v1
	v_pack_b32_f16 v26, v26, v35
	v_pack_b32_f16 v29, v29, v32
	v_add_u16_sdwa v0, v1, v0 dst_sel:DWORD dst_unused:UNUSED_PAD src0_sel:DWORD src1_sel:WORD_1
	v_mul_u32_u24_sdwa v1, v96, s7 dst_sel:DWORD dst_unused:UNUSED_PAD src0_sel:WORD_0 src1_sel:DWORD
	ds_write2_b32 v208, v26, v29 offset1:9
	v_sub_u16_sdwa v26, v96, v1 dst_sel:DWORD dst_unused:UNUSED_PAD src0_sel:DWORD src1_sel:WORD_1
	v_lshrrev_b16_e32 v26, 1, v26
	v_add_u16_sdwa v1, v26, v1 dst_sel:DWORD dst_unused:UNUSED_PAD src0_sel:DWORD src1_sel:WORD_1
	v_mov_b32_e32 v26, 19
	v_mul_lo_u16_sdwa v26, v140, v26 dst_sel:DWORD dst_unused:UNUSED_PAD src0_sel:BYTE_0 src1_sel:DWORD
	v_lshrrev_b16_e32 v50, 9, v26
	v_mul_lo_u16_e32 v26, 27, v50
	v_sub_u16_e32 v26, v140, v26
	v_lshrrev_b16_e32 v0, 4, v0
	v_and_b32_e32 v51, 0xff, v26
	v_mul_lo_u16_e32 v26, 27, v0
	v_lshrrev_b16_e32 v1, 4, v1
	v_sub_u16_e32 v67, v84, v26
	v_mul_lo_u16_e32 v28, 27, v1
	v_lshlrev_b16_e32 v26, 3, v67
	v_mov_b32_e32 v27, v237
	v_sub_u16_e32 v85, v96, v28
	v_lshl_add_u64 v[26:27], s[10:11], 0, v[26:27]
	v_lshlrev_b16_e32 v28, 3, v85
	v_mov_b32_e32 v29, v237
	s_waitcnt lgkmcnt(0)
	s_barrier
	v_lshl_add_u64 v[32:33], s[10:11], 0, v[28:29]
	global_load_dwordx2 v[28:29], v[26:27], off offset:96
	global_load_dwordx2 v[34:35], v[32:33], off offset:96
	v_lshlrev_b32_e32 v26, 3, v51
	global_load_dwordx2 v[26:27], v26, s[10:11] offset:96
	v_mul_u32_u24_sdwa v32, v66, s7 dst_sel:DWORD dst_unused:UNUSED_PAD src0_sel:WORD_0 src1_sel:DWORD
	v_sub_u16_sdwa v33, v66, v32 dst_sel:DWORD dst_unused:UNUSED_PAD src0_sel:DWORD src1_sel:WORD_1
	v_lshrrev_b16_e32 v33, 1, v33
	v_add_u16_sdwa v32, v33, v32 dst_sel:DWORD dst_unused:UNUSED_PAD src0_sel:DWORD src1_sel:WORD_1
	v_lshrrev_b16_e32 v97, 4, v32
	v_mul_lo_u16_e32 v32, 27, v97
	v_sub_u16_e32 v98, v66, v32
	v_lshlrev_b16_e32 v32, 3, v98
	v_mov_b32_e32 v33, v237
	v_lshl_add_u64 v[32:33], s[10:11], 0, v[32:33]
	global_load_dwordx2 v[32:33], v[32:33], off offset:96
	v_mul_u32_u24_sdwa v40, v102, s7 dst_sel:DWORD dst_unused:UNUSED_PAD src0_sel:WORD_0 src1_sel:DWORD
	v_sub_u16_sdwa v41, v102, v40 dst_sel:DWORD dst_unused:UNUSED_PAD src0_sel:DWORD src1_sel:WORD_1
	v_lshrrev_b16_e32 v41, 1, v41
	v_add_u16_sdwa v62, v41, v40 dst_sel:DWORD dst_unused:UNUSED_PAD src0_sel:DWORD src1_sel:WORD_1
	v_mul_u32_u24_sdwa v40, v120, s7 dst_sel:DWORD dst_unused:UNUSED_PAD src0_sel:WORD_0 src1_sel:DWORD
	v_sub_u16_sdwa v41, v120, v40 dst_sel:DWORD dst_unused:UNUSED_PAD src0_sel:DWORD src1_sel:WORD_1
	v_lshrrev_b16_e32 v41, 1, v41
	v_add_u16_sdwa v63, v41, v40 dst_sel:DWORD dst_unused:UNUSED_PAD src0_sel:DWORD src1_sel:WORD_1
	;; [unrolled: 4-line block ×3, first 2 shown]
	v_mul_u32_u24_sdwa v40, v124, s7 dst_sel:DWORD dst_unused:UNUSED_PAD src0_sel:WORD_0 src1_sel:DWORD
	v_sub_u16_sdwa v41, v124, v40 dst_sel:DWORD dst_unused:UNUSED_PAD src0_sel:DWORD src1_sel:WORD_1
	v_mul_u32_u24_sdwa v42, v126, s7 dst_sel:DWORD dst_unused:UNUSED_PAD src0_sel:WORD_0 src1_sel:DWORD
	v_lshrrev_b16_e32 v41, 1, v41
	v_sub_u16_sdwa v43, v126, v42 dst_sel:DWORD dst_unused:UNUSED_PAD src0_sel:DWORD src1_sel:WORD_1
	v_add_u16_sdwa v70, v41, v40 dst_sel:DWORD dst_unused:UNUSED_PAD src0_sel:DWORD src1_sel:WORD_1
	ds_read2_b32 v[40:41], v179 offset0:8 offset1:251
	v_lshrrev_b16_e32 v43, 1, v43
	v_add_u16_sdwa v78, v43, v42 dst_sel:DWORD dst_unused:UNUSED_PAD src0_sel:DWORD src1_sel:WORD_1
	ds_read2_b32 v[42:43], v178 offset0:6 offset1:249
	ds_read2_b32 v[46:47], v236 offset1:243
	s_waitcnt lgkmcnt(2)
	v_lshrrev_b32_e32 v65, 16, v41
	v_lshrrev_b16_e32 v103, 4, v62
	v_lshrrev_b16_e32 v109, 4, v70
	s_waitcnt lgkmcnt(1)
	v_lshrrev_b32_e32 v72, 16, v42
	s_waitcnt lgkmcnt(0)
	v_lshrrev_b32_e32 v74, 16, v46
	v_lshrrev_b16_e32 v105, 4, v63
	v_lshrrev_b16_e32 v107, 4, v64
	v_mul_lo_u16_e32 v70, 27, v109
	v_mul_lo_u16_e32 v62, 27, v105
	;; [unrolled: 1-line block ×3, first 2 shown]
	v_sub_u16_e32 v110, v124, v70
	v_sub_u16_e32 v106, v120, v62
	v_sub_u16_e32 v108, v122, v64
	v_lshlrev_b16_e32 v70, 3, v110
	v_lshlrev_b16_e32 v62, 3, v106
	v_mov_b32_e32 v63, v237
	v_lshlrev_b16_e32 v64, 3, v108
	v_lshl_add_u64 v[62:63], s[10:11], 0, v[62:63]
	v_lshrrev_b16_e32 v111, 4, v78
	s_movk_i32 s7, 0x51
	v_mad_legacy_u16 v0, v0, s7, v67
	v_lshlrev_b32_e32 v211, 2, v0
	v_mad_legacy_u16 v1, v1, s7, v85
	v_lshlrev_b32_e32 v212, 2, v1
	s_waitcnt vmcnt(1)
	v_mul_f16_sdwa v71, v41, v26 dst_sel:DWORD dst_unused:UNUSED_PAD src0_sel:DWORD src1_sel:WORD_1
	v_fma_f16 v71, v65, v26, v71
	v_mul_f16_sdwa v73, v42, v27 dst_sel:DWORD dst_unused:UNUSED_PAD src0_sel:DWORD src1_sel:WORD_1
	v_mul_f16_sdwa v65, v65, v26 dst_sel:DWORD dst_unused:UNUSED_PAD src0_sel:DWORD src1_sel:WORD_1
	v_fma_f16 v73, v72, v27, v73
	v_fma_f16 v41, v41, v26, -v65
	v_mul_f16_sdwa v65, v72, v27 dst_sel:DWORD dst_unused:UNUSED_PAD src0_sel:DWORD src1_sel:WORD_1
	v_add_f16_e32 v75, v74, v71
	v_sub_f16_e32 v99, v71, v73
	v_add_f16_e32 v71, v71, v73
	v_fma_f16 v42, v42, v27, -v65
	v_fma_f16 v100, v71, -0.5, v74
	v_add_f16_e32 v65, v46, v41
	v_add_f16_e32 v71, v41, v42
	;; [unrolled: 1-line block ×3, first 2 shown]
	v_sub_f16_e32 v41, v41, v42
	v_mul_u32_u24_e32 v42, 0x51, v50
	v_fma_f16 v46, v71, -0.5, v46
	v_add_lshl_u32 v209, v42, v51, 2
	v_fma_f16 v50, v99, s2, v46
	v_fma_f16 v51, v41, s3, v100
	v_pack_b32_f16 v101, v50, v51
	v_mul_lo_u16_e32 v50, 27, v103
	v_sub_u16_e32 v104, v102, v50
	v_add_f16_e32 v75, v75, v73
	v_lshlrev_b16_e32 v50, 3, v104
	v_mov_b32_e32 v51, v237
	v_mov_b32_e32 v71, v237
	v_pack_b32_f16 v42, v65, v75
	v_lshl_add_u64 v[50:51], s[10:11], 0, v[50:51]
	v_mov_b32_e32 v65, v237
	v_lshl_add_u64 v[76:77], s[10:11], 0, v[70:71]
	v_lshl_add_u64 v[64:65], s[10:11], 0, v[64:65]
	global_load_dwordx2 v[70:71], v[50:51], off offset:96
	global_load_dwordx2 v[72:73], v[62:63], off offset:96
	;; [unrolled: 1-line block ×3, first 2 shown]
	s_nop 0
	global_load_dwordx2 v[76:77], v[76:77], off offset:96
	v_mul_lo_u16_e32 v50, 27, v111
	v_sub_u16_e32 v112, v126, v50
	v_lshlrev_b16_e32 v50, 3, v112
	v_mov_b32_e32 v51, v237
	v_lshl_add_u64 v[50:51], s[10:11], 0, v[50:51]
	global_load_dwordx2 v[78:79], v[50:51], off offset:96
	ds_read_b32 v113, v236 offset:25272
	ds_read2_b32 v[50:51], v177 offset0:6 offset1:249
	ds_read2_b32 v[62:63], v175 offset0:6 offset1:249
	;; [unrolled: 1-line block ×9, first 2 shown]
	ds_read2_b32 v[94:95], v149 offset1:243
	s_waitcnt lgkmcnt(0)
	s_barrier
	ds_write2_b32 v209, v42, v101 offset1:27
	v_lshrrev_b32_e32 v42, 16, v43
	s_waitcnt vmcnt(5)
	v_mul_f16_sdwa v101, v42, v33 dst_sel:DWORD dst_unused:UNUSED_PAD src0_sel:DWORD src1_sel:WORD_1
	v_fma_f16 v101, v43, v33, -v101
	v_mul_f16_sdwa v43, v43, v33 dst_sel:DWORD dst_unused:UNUSED_PAD src0_sel:DWORD src1_sel:WORD_1
	v_fma_f16 v42, v42, v33, v43
	v_fma_f16 v43, v99, s3, v46
	v_lshrrev_b32_e32 v46, 16, v50
	v_mul_f16_sdwa v99, v50, v32 dst_sel:DWORD dst_unused:UNUSED_PAD src0_sel:DWORD src1_sel:WORD_1
	v_fma_f16 v99, v46, v32, v99
	v_mul_f16_sdwa v46, v46, v32 dst_sel:DWORD dst_unused:UNUSED_PAD src0_sel:DWORD src1_sel:WORD_1
	v_fma_f16 v41, v41, s2, v100
	v_fma_f16 v46, v50, v32, -v46
	v_lshrrev_b32_e32 v100, 16, v47
	v_add_f16_e32 v50, v46, v101
	v_add_f16_e32 v114, v100, v99
	v_fma_f16 v50, v50, -0.5, v47
	v_add_f16_e32 v47, v47, v46
	v_add_f16_e32 v114, v114, v42
	v_sub_f16_e32 v115, v99, v42
	v_add_f16_e32 v42, v99, v42
	v_fma_f16 v42, v42, -0.5, v100
	v_add_f16_e32 v47, v47, v101
	v_sub_f16_e32 v46, v46, v101
	v_pack_b32_f16 v41, v43, v41
	ds_write_b32 v209, v41 offset:216
	v_mad_legacy_u16 v41, v97, s7, v98
	v_pack_b32_f16 v43, v47, v114
	v_fma_f16 v47, v115, s2, v50
	v_fma_f16 v97, v46, s3, v42
	v_pack_b32_f16 v47, v47, v97
	v_lshlrev_b32_e32 v210, 2, v41
	ds_write2_b32 v210, v43, v47 offset1:27
	v_lshrrev_b32_e32 v41, 16, v51
	v_mul_f16_sdwa v47, v51, v28 dst_sel:DWORD dst_unused:UNUSED_PAD src0_sel:DWORD src1_sel:WORD_1
	v_mul_f16_sdwa v43, v41, v28 dst_sel:DWORD dst_unused:UNUSED_PAD src0_sel:DWORD src1_sel:WORD_1
	v_fma_f16 v41, v41, v28, v47
	v_fma_f16 v47, v115, s3, v50
	;; [unrolled: 1-line block ×3, first 2 shown]
	v_lshrrev_b32_e32 v46, 16, v64
	v_mul_f16_sdwa v50, v64, v29 dst_sel:DWORD dst_unused:UNUSED_PAD src0_sel:DWORD src1_sel:WORD_1
	v_fma_f16 v43, v51, v28, -v43
	v_fma_f16 v50, v46, v29, v50
	v_lshrrev_b32_e32 v51, 16, v62
	v_mul_f16_sdwa v46, v46, v29 dst_sel:DWORD dst_unused:UNUSED_PAD src0_sel:DWORD src1_sel:WORD_1
	v_add_f16_e32 v97, v51, v41
	v_sub_f16_e32 v98, v41, v50
	v_add_f16_e32 v41, v41, v50
	v_fma_f16 v46, v64, v29, -v46
	v_add_f16_e32 v97, v97, v50
	v_fma_f16 v41, v41, -0.5, v51
	v_add_f16_e32 v50, v62, v43
	v_add_f16_e32 v51, v43, v46
	;; [unrolled: 1-line block ×3, first 2 shown]
	v_sub_f16_e32 v43, v43, v46
	v_pack_b32_f16 v42, v47, v42
	v_fma_f16 v46, v51, -0.5, v62
	ds_write_b32 v210, v42 offset:216
	v_pack_b32_f16 v42, v50, v97
	v_fma_f16 v47, v98, s2, v46
	v_fma_f16 v50, v43, s3, v41
	v_pack_b32_f16 v47, v47, v50
	ds_write2_b32 v211, v42, v47 offset1:27
	v_lshrrev_b32_e32 v0, 16, v65
	v_mul_f16_sdwa v47, v65, v35 dst_sel:DWORD dst_unused:UNUSED_PAD src0_sel:DWORD src1_sel:WORD_1
	v_mul_f16_sdwa v42, v0, v35 dst_sel:DWORD dst_unused:UNUSED_PAD src0_sel:DWORD src1_sel:WORD_1
	v_fma_f16 v0, v0, v35, v47
	v_fma_f16 v41, v43, s2, v41
	v_lshrrev_b32_e32 v43, 16, v80
	v_mul_f16_sdwa v47, v80, v34 dst_sel:DWORD dst_unused:UNUSED_PAD src0_sel:DWORD src1_sel:WORD_1
	v_fma_f16 v47, v43, v34, v47
	v_mul_f16_sdwa v43, v43, v34 dst_sel:DWORD dst_unused:UNUSED_PAD src0_sel:DWORD src1_sel:WORD_1
	v_fma_f16 v42, v65, v35, -v42
	v_fma_f16 v43, v80, v34, -v43
	v_add_f16_e32 v50, v43, v42
	v_lshrrev_b32_e32 v51, 16, v63
	v_fma_f16 v50, v50, -0.5, v63
	v_add_f16_e32 v62, v63, v43
	v_add_f16_e32 v63, v51, v47
	;; [unrolled: 1-line block ×3, first 2 shown]
	v_sub_f16_e32 v64, v47, v0
	v_add_f16_e32 v0, v47, v0
	v_fma_f16 v46, v98, s3, v46
	v_fma_f16 v0, v0, -0.5, v51
	v_add_f16_e32 v47, v62, v42
	v_sub_f16_e32 v42, v43, v42
	v_pack_b32_f16 v41, v46, v41
	v_fma_f16 v43, v64, s2, v50
	v_fma_f16 v46, v42, s3, v0
	ds_write_b32 v211, v41 offset:216
	v_pack_b32_f16 v41, v47, v63
	v_pack_b32_f16 v43, v43, v46
	ds_write2_b32 v212, v41, v43 offset1:27
	v_lshrrev_b32_e32 v1, 16, v81
	s_waitcnt vmcnt(4)
	v_mul_f16_sdwa v43, v81, v70 dst_sel:DWORD dst_unused:UNUSED_PAD src0_sel:DWORD src1_sel:WORD_1
	v_fma_f16 v0, v42, s2, v0
	v_lshrrev_b32_e32 v42, 16, v86
	v_mul_f16_sdwa v46, v86, v71 dst_sel:DWORD dst_unused:UNUSED_PAD src0_sel:DWORD src1_sel:WORD_1
	v_mul_f16_sdwa v41, v1, v70 dst_sel:DWORD dst_unused:UNUSED_PAD src0_sel:DWORD src1_sel:WORD_1
	v_fma_f16 v1, v1, v70, v43
	v_fma_f16 v46, v42, v71, v46
	v_lshrrev_b32_e32 v47, 16, v82
	v_mul_f16_sdwa v42, v42, v71 dst_sel:DWORD dst_unused:UNUSED_PAD src0_sel:DWORD src1_sel:WORD_1
	v_fma_f16 v41, v81, v70, -v41
	v_fma_f16 v43, v64, s3, v50
	v_add_f16_e32 v50, v47, v1
	v_sub_f16_e32 v51, v1, v46
	v_add_f16_e32 v1, v1, v46
	v_fma_f16 v42, v86, v71, -v42
	v_add_f16_e32 v50, v50, v46
	v_fma_f16 v1, v1, -0.5, v47
	v_add_f16_e32 v46, v82, v41
	v_add_f16_e32 v47, v41, v42
	;; [unrolled: 1-line block ×3, first 2 shown]
	v_sub_f16_e32 v41, v41, v42
	v_pack_b32_f16 v0, v43, v0
	v_fma_f16 v43, v47, -0.5, v82
	ds_write_b32 v212, v0 offset:216
	v_mad_legacy_u16 v0, v103, s7, v104
	v_pack_b32_f16 v42, v46, v50
	v_fma_f16 v46, v51, s2, v43
	v_fma_f16 v47, v41, s3, v1
	v_pack_b32_f16 v46, v46, v47
	v_lshlrev_b32_e32 v213, 2, v0
	ds_write2_b32 v213, v42, v46 offset1:27
	v_lshrrev_b32_e32 v0, 16, v87
	s_waitcnt vmcnt(3)
	v_mul_f16_sdwa v46, v87, v73 dst_sel:DWORD dst_unused:UNUSED_PAD src0_sel:DWORD src1_sel:WORD_1
	v_mul_f16_sdwa v42, v0, v73 dst_sel:DWORD dst_unused:UNUSED_PAD src0_sel:DWORD src1_sel:WORD_1
	v_fma_f16 v0, v0, v73, v46
	v_fma_f16 v1, v41, s2, v1
	v_lshrrev_b32_e32 v41, 16, v88
	v_mul_f16_sdwa v46, v88, v72 dst_sel:DWORD dst_unused:UNUSED_PAD src0_sel:DWORD src1_sel:WORD_1
	v_fma_f16 v46, v41, v72, v46
	v_mul_f16_sdwa v41, v41, v72 dst_sel:DWORD dst_unused:UNUSED_PAD src0_sel:DWORD src1_sel:WORD_1
	v_lshrrev_b32_e32 v50, 16, v83
	v_fma_f16 v42, v87, v73, -v42
	v_fma_f16 v41, v88, v72, -v41
	v_add_f16_e32 v62, v50, v46
	v_fma_f16 v43, v51, s3, v43
	v_add_f16_e32 v47, v41, v42
	v_add_f16_e32 v51, v83, v41
	;; [unrolled: 1-line block ×3, first 2 shown]
	v_sub_f16_e32 v63, v46, v0
	v_add_f16_e32 v0, v46, v0
	v_fma_f16 v47, v47, -0.5, v83
	v_fma_f16 v0, v0, -0.5, v50
	v_add_f16_e32 v46, v51, v42
	v_sub_f16_e32 v41, v41, v42
	v_pack_b32_f16 v1, v43, v1
	ds_write_b32 v213, v1 offset:216
	v_mad_legacy_u16 v1, v105, s7, v106
	v_pack_b32_f16 v42, v46, v62
	v_fma_f16 v43, v63, s2, v47
	v_fma_f16 v46, v41, s3, v0
	v_pack_b32_f16 v43, v43, v46
	v_lshlrev_b32_e32 v215, 2, v1
	ds_write2_b32 v215, v42, v43 offset1:27
	v_lshrrev_b32_e32 v1, 16, v89
	s_waitcnt vmcnt(2)
	v_mul_f16_sdwa v43, v89, v74 dst_sel:DWORD dst_unused:UNUSED_PAD src0_sel:DWORD src1_sel:WORD_1
	v_fma_f16 v0, v41, s2, v0
	v_lshrrev_b32_e32 v41, 16, v92
	v_mul_f16_sdwa v46, v92, v75 dst_sel:DWORD dst_unused:UNUSED_PAD src0_sel:DWORD src1_sel:WORD_1
	v_mul_f16_sdwa v42, v1, v74 dst_sel:DWORD dst_unused:UNUSED_PAD src0_sel:DWORD src1_sel:WORD_1
	v_fma_f16 v1, v1, v74, v43
	v_fma_f16 v43, v63, s3, v47
	;; [unrolled: 1-line block ×3, first 2 shown]
	v_lshrrev_b32_e32 v47, 16, v90
	v_mul_f16_sdwa v41, v41, v75 dst_sel:DWORD dst_unused:UNUSED_PAD src0_sel:DWORD src1_sel:WORD_1
	v_fma_f16 v42, v89, v74, -v42
	v_add_f16_e32 v50, v47, v1
	v_sub_f16_e32 v51, v1, v46
	v_add_f16_e32 v1, v1, v46
	v_fma_f16 v41, v92, v75, -v41
	v_add_f16_e32 v50, v50, v46
	v_fma_f16 v1, v1, -0.5, v47
	v_add_f16_e32 v46, v90, v42
	v_add_f16_e32 v47, v42, v41
	;; [unrolled: 1-line block ×3, first 2 shown]
	v_sub_f16_e32 v41, v42, v41
	v_pack_b32_f16 v0, v43, v0
	v_fma_f16 v43, v47, -0.5, v90
	ds_write_b32 v215, v0 offset:216
	v_mad_legacy_u16 v0, v107, s7, v108
	v_pack_b32_f16 v42, v46, v50
	v_fma_f16 v46, v51, s2, v43
	v_fma_f16 v47, v41, s3, v1
	v_pack_b32_f16 v46, v46, v47
	v_lshlrev_b32_e32 v216, 2, v0
	ds_write2_b32 v216, v42, v46 offset1:27
	v_lshrrev_b32_e32 v0, 16, v93
	s_waitcnt vmcnt(1)
	v_mul_f16_sdwa v46, v93, v77 dst_sel:DWORD dst_unused:UNUSED_PAD src0_sel:DWORD src1_sel:WORD_1
	v_mul_f16_sdwa v42, v0, v77 dst_sel:DWORD dst_unused:UNUSED_PAD src0_sel:DWORD src1_sel:WORD_1
	v_fma_f16 v0, v0, v77, v46
	v_fma_f16 v1, v41, s2, v1
	v_lshrrev_b32_e32 v41, 16, v94
	v_mul_f16_sdwa v46, v94, v76 dst_sel:DWORD dst_unused:UNUSED_PAD src0_sel:DWORD src1_sel:WORD_1
	v_fma_f16 v46, v41, v76, v46
	v_mul_f16_sdwa v41, v41, v76 dst_sel:DWORD dst_unused:UNUSED_PAD src0_sel:DWORD src1_sel:WORD_1
	v_lshrrev_b32_e32 v50, 16, v91
	v_fma_f16 v42, v93, v77, -v42
	v_fma_f16 v41, v94, v76, -v41
	v_add_f16_e32 v62, v50, v46
	v_fma_f16 v43, v51, s3, v43
	v_add_f16_e32 v47, v41, v42
	v_add_f16_e32 v51, v91, v41
	v_add_f16_e32 v62, v62, v0
	v_sub_f16_e32 v63, v46, v0
	v_add_f16_e32 v0, v46, v0
	v_fma_f16 v47, v47, -0.5, v91
	v_fma_f16 v0, v0, -0.5, v50
	v_add_f16_e32 v46, v51, v42
	v_sub_f16_e32 v41, v41, v42
	v_pack_b32_f16 v1, v43, v1
	ds_write_b32 v216, v1 offset:216
	v_mad_legacy_u16 v1, v109, s7, v110
	v_pack_b32_f16 v42, v46, v62
	v_fma_f16 v43, v63, s2, v47
	v_fma_f16 v46, v41, s3, v0
	v_pack_b32_f16 v43, v43, v46
	v_lshlrev_b32_e32 v217, 2, v1
	ds_write2_b32 v217, v42, v43 offset1:27
	v_lshrrev_b32_e32 v1, 16, v95
	s_waitcnt vmcnt(0)
	v_mul_f16_sdwa v43, v95, v78 dst_sel:DWORD dst_unused:UNUSED_PAD src0_sel:DWORD src1_sel:WORD_1
	v_mul_f16_sdwa v42, v1, v78 dst_sel:DWORD dst_unused:UNUSED_PAD src0_sel:DWORD src1_sel:WORD_1
	v_fma_f16 v1, v1, v78, v43
	v_lshrrev_b32_e32 v43, 16, v113
	v_mul_f16_sdwa v46, v43, v79 dst_sel:DWORD dst_unused:UNUSED_PAD src0_sel:DWORD src1_sel:WORD_1
	v_mul_f16_sdwa v50, v113, v79 dst_sel:DWORD dst_unused:UNUSED_PAD src0_sel:DWORD src1_sel:WORD_1
	v_fma_f16 v42, v95, v78, -v42
	v_fma_f16 v46, v113, v79, -v46
	v_fma_f16 v43, v43, v79, v50
	v_fma_f16 v47, v63, s3, v47
	;; [unrolled: 1-line block ×3, first 2 shown]
	v_lshrrev_b32_e32 v50, 16, v40
	v_add_f16_e32 v41, v42, v46
	v_add_f16_e32 v51, v50, v1
	v_sub_f16_e32 v62, v1, v43
	v_add_f16_e32 v1, v1, v43
	v_pack_b32_f16 v0, v47, v0
	v_fma_f16 v41, v41, -0.5, v40
	v_add_f16_e32 v40, v40, v42
	v_fma_f16 v1, v1, -0.5, v50
	v_sub_f16_e32 v42, v42, v46
	ds_write_b32 v217, v0 offset:216
	v_mad_legacy_u16 v0, v111, s7, v112
	v_add_f16_e32 v40, v40, v46
	v_fma_f16 v46, v42, s3, v1
	v_lshlrev_b32_e32 v218, 2, v0
	v_fma_f16 v0, v62, s3, v41
	v_fma_f16 v1, v42, s2, v1
	v_add_f16_e32 v51, v51, v43
	v_fma_f16 v43, v62, s2, v41
	v_pack_b32_f16 v0, v0, v1
	s_movk_i32 s7, 0xcb
	v_pack_b32_f16 v40, v40, v51
	v_pack_b32_f16 v43, v43, v46
	ds_write_b32 v218, v0 offset:216
	v_mul_lo_u16_sdwa v0, v140, s7 dst_sel:DWORD dst_unused:UNUSED_PAD src0_sel:BYTE_0 src1_sel:DWORD
	s_movk_i32 s7, 0x6523
	ds_write2_b32 v218, v40, v43 offset1:27
	v_mul_u32_u24_sdwa v40, v84, s7 dst_sel:DWORD dst_unused:UNUSED_PAD src0_sel:WORD_0 src1_sel:DWORD
	v_mul_u32_u24_sdwa v42, v96, s7 dst_sel:DWORD dst_unused:UNUSED_PAD src0_sel:WORD_0 src1_sel:DWORD
	v_lshrrev_b32_e32 v67, 21, v40
	v_lshrrev_b32_e32 v97, 21, v42
	v_lshrrev_b16_e32 v0, 14, v0
	v_mul_lo_u16_e32 v40, 0x51, v67
	v_mul_lo_u16_e32 v42, 0x51, v97
	;; [unrolled: 1-line block ×3, first 2 shown]
	v_sub_u16_e32 v85, v84, v40
	v_sub_u16_e32 v103, v96, v42
	;; [unrolled: 1-line block ×3, first 2 shown]
	v_lshlrev_b16_e32 v40, 3, v85
	v_mov_b32_e32 v41, v237
	v_lshlrev_b16_e32 v42, 3, v103
	v_mov_b32_e32 v43, v237
	v_and_b32_e32 v1, 0xff, v1
	v_lshl_add_u64 v[40:41], s[10:11], 0, v[40:41]
	v_lshl_add_u64 v[42:43], s[10:11], 0, v[42:43]
	s_waitcnt lgkmcnt(0)
	s_barrier
	global_load_dwordx2 v[40:41], v[40:41], off offset:312
	s_nop 0
	global_load_dwordx2 v[46:47], v[42:43], off offset:312
	v_lshlrev_b32_e32 v42, 3, v1
	global_load_dwordx2 v[42:43], v42, s[10:11] offset:312
	v_mul_u32_u24_sdwa v50, v66, s7 dst_sel:DWORD dst_unused:UNUSED_PAD src0_sel:WORD_0 src1_sel:DWORD
	v_lshrrev_b32_e32 v118, 21, v50
	v_mul_lo_u16_e32 v50, 0x51, v118
	v_sub_u16_e32 v119, v66, v50
	v_lshlrev_b16_e32 v50, 3, v119
	v_mov_b32_e32 v51, v237
	v_lshl_add_u64 v[50:51], s[10:11], 0, v[50:51]
	global_load_dwordx2 v[50:51], v[50:51], off offset:312
	ds_read2_b32 v[62:63], v179 offset0:8 offset1:251
	ds_read2_b32 v[88:89], v178 offset0:6 offset1:249
	ds_read2_b32 v[64:65], v236 offset1:243
	v_mul_u32_u24_e32 v0, 0xf3, v0
	v_add_lshl_u32 v214, v0, v1, 2
	s_waitcnt lgkmcnt(2)
	v_lshrrev_b32_e32 v80, 16, v63
	s_waitcnt lgkmcnt(1)
	v_lshrrev_b32_e32 v82, 16, v88
	;; [unrolled: 2-line block ×3, first 2 shown]
	v_mul_u32_u24_sdwa v90, v124, s7 dst_sel:DWORD dst_unused:UNUSED_PAD src0_sel:WORD_0 src1_sel:DWORD
	v_lshrrev_b32_e32 v131, 21, v90
	v_mul_lo_u16_e32 v90, 0x51, v131
	v_sub_u16_e32 v132, v124, v90
	v_lshlrev_b16_e32 v90, 3, v132
	v_mov_b32_e32 v91, v237
	v_lshl_add_u64 v[90:91], s[10:11], 0, v[90:91]
	v_mul_u32_u24_sdwa v92, v126, s7 dst_sel:DWORD dst_unused:UNUSED_PAD src0_sel:WORD_0 src1_sel:DWORD
	v_lshrrev_b32_e32 v133, 21, v92
	v_mul_lo_u16_e32 v92, 0x51, v133
	v_sub_u16_e32 v134, v126, v92
	v_lshlrev_b16_e32 v92, 3, v134
	v_mov_b32_e32 v93, v237
	v_lshl_add_u64 v[92:93], s[10:11], 0, v[92:93]
	s_waitcnt vmcnt(1)
	v_mul_f16_sdwa v81, v63, v42 dst_sel:DWORD dst_unused:UNUSED_PAD src0_sel:DWORD src1_sel:WORD_1
	v_fma_f16 v81, v80, v42, v81
	v_mul_f16_sdwa v80, v80, v42 dst_sel:DWORD dst_unused:UNUSED_PAD src0_sel:DWORD src1_sel:WORD_1
	v_mul_f16_sdwa v83, v88, v43 dst_sel:DWORD dst_unused:UNUSED_PAD src0_sel:DWORD src1_sel:WORD_1
	v_fma_f16 v63, v63, v42, -v80
	v_mul_f16_sdwa v80, v82, v43 dst_sel:DWORD dst_unused:UNUSED_PAD src0_sel:DWORD src1_sel:WORD_1
	v_fma_f16 v83, v82, v43, v83
	v_fma_f16 v80, v88, v43, -v80
	v_add_f16_e32 v87, v86, v81
	v_sub_f16_e32 v121, v81, v83
	v_add_f16_e32 v81, v81, v83
	v_add_f16_e32 v82, v63, v80
	v_fma_f16 v123, v81, -0.5, v86
	v_add_f16_e32 v81, v64, v63
	v_sub_f16_e32 v63, v63, v80
	v_fma_f16 v1, v82, -0.5, v64
	v_add_f16_e32 v81, v81, v80
	v_fma_f16 v64, v121, s2, v1
	v_fma_f16 v80, v63, s3, v123
	v_pack_b32_f16 v64, v64, v80
	v_mul_u32_u24_sdwa v80, v102, s7 dst_sel:DWORD dst_unused:UNUSED_PAD src0_sel:WORD_0 src1_sel:DWORD
	v_mul_u32_u24_sdwa v82, v120, s7 dst_sel:DWORD dst_unused:UNUSED_PAD src0_sel:WORD_0 src1_sel:DWORD
	;; [unrolled: 1-line block ×3, first 2 shown]
	v_lshrrev_b32_e32 v88, 21, v80
	v_lshrrev_b32_e32 v127, 21, v82
	;; [unrolled: 1-line block ×3, first 2 shown]
	v_mul_lo_u16_e32 v80, 0x51, v88
	v_mul_lo_u16_e32 v82, 0x51, v127
	;; [unrolled: 1-line block ×3, first 2 shown]
	v_add_f16_e32 v87, v87, v83
	v_sub_u16_e32 v125, v102, v80
	v_sub_u16_e32 v128, v120, v82
	;; [unrolled: 1-line block ×3, first 2 shown]
	v_pack_b32_f16 v0, v81, v87
	v_lshlrev_b16_e32 v80, 3, v125
	v_mov_b32_e32 v81, v237
	v_lshlrev_b16_e32 v82, 3, v128
	v_mov_b32_e32 v83, v237
	;; [unrolled: 2-line block ×3, first 2 shown]
	v_lshl_add_u64 v[80:81], s[10:11], 0, v[80:81]
	v_lshl_add_u64 v[82:83], s[10:11], 0, v[82:83]
	;; [unrolled: 1-line block ×3, first 2 shown]
	global_load_dwordx2 v[80:81], v[80:81], off offset:312
	s_nop 0
	global_load_dwordx2 v[82:83], v[82:83], off offset:312
	s_nop 0
	;; [unrolled: 2-line block ×3, first 2 shown]
	global_load_dwordx2 v[90:91], v[90:91], off offset:312
	v_fma_f16 v1, v121, s3, v1
	global_load_dwordx2 v[92:93], v[92:93], off offset:312
	ds_read_b32 v135, v236 offset:25272
	ds_read2_b32 v[94:95], v177 offset0:6 offset1:249
	ds_read2_b32 v[98:99], v175 offset0:6 offset1:249
	;; [unrolled: 1-line block ×9, first 2 shown]
	ds_read2_b32 v[116:117], v149 offset1:243
	s_waitcnt lgkmcnt(0)
	s_barrier
	ds_write2_b32 v214, v0, v64 offset1:81
	v_lshrrev_b32_e32 v0, 16, v89
	s_waitcnt vmcnt(5)
	v_mul_f16_sdwa v64, v0, v51 dst_sel:DWORD dst_unused:UNUSED_PAD src0_sel:DWORD src1_sel:WORD_1
	v_fma_f16 v64, v89, v51, -v64
	v_mul_f16_sdwa v89, v89, v51 dst_sel:DWORD dst_unused:UNUSED_PAD src0_sel:DWORD src1_sel:WORD_1
	v_fma_f16 v0, v0, v51, v89
	v_lshrrev_b32_e32 v89, 16, v94
	v_mul_f16_sdwa v121, v94, v50 dst_sel:DWORD dst_unused:UNUSED_PAD src0_sel:DWORD src1_sel:WORD_1
	v_fma_f16 v121, v89, v50, v121
	v_mul_f16_sdwa v89, v89, v50 dst_sel:DWORD dst_unused:UNUSED_PAD src0_sel:DWORD src1_sel:WORD_1
	v_fma_f16 v63, v63, s2, v123
	v_fma_f16 v89, v94, v50, -v89
	v_lshrrev_b32_e32 v123, 16, v65
	v_add_f16_e32 v94, v89, v64
	v_add_f16_e32 v136, v123, v121
	v_fma_f16 v94, v94, -0.5, v65
	v_add_f16_e32 v65, v65, v89
	v_add_f16_e32 v136, v136, v0
	v_sub_f16_e32 v137, v121, v0
	v_add_f16_e32 v0, v121, v0
	v_fma_f16 v0, v0, -0.5, v123
	v_add_f16_e32 v65, v65, v64
	v_sub_f16_e32 v64, v89, v64
	v_pack_b32_f16 v1, v1, v63
	ds_write_b32 v214, v1 offset:648
	v_mad_legacy_u16 v1, v118, s16, v119
	v_pack_b32_f16 v63, v65, v136
	v_fma_f16 v65, v137, s2, v94
	v_fma_f16 v89, v64, s3, v0
	v_pack_b32_f16 v65, v65, v89
	v_lshlrev_b32_e32 v219, 2, v1
	ds_write2_b32 v219, v63, v65 offset1:81
	v_lshrrev_b32_e32 v1, 16, v95
	v_mul_f16_sdwa v65, v95, v40 dst_sel:DWORD dst_unused:UNUSED_PAD src0_sel:DWORD src1_sel:WORD_1
	v_fma_f16 v0, v64, s2, v0
	v_lshrrev_b32_e32 v64, 16, v100
	v_mul_f16_sdwa v89, v100, v41 dst_sel:DWORD dst_unused:UNUSED_PAD src0_sel:DWORD src1_sel:WORD_1
	v_mul_f16_sdwa v63, v1, v40 dst_sel:DWORD dst_unused:UNUSED_PAD src0_sel:DWORD src1_sel:WORD_1
	v_fma_f16 v1, v1, v40, v65
	v_fma_f16 v65, v137, s3, v94
	;; [unrolled: 1-line block ×3, first 2 shown]
	v_lshrrev_b32_e32 v94, 16, v98
	v_mul_f16_sdwa v64, v64, v41 dst_sel:DWORD dst_unused:UNUSED_PAD src0_sel:DWORD src1_sel:WORD_1
	v_fma_f16 v63, v95, v40, -v63
	v_add_f16_e32 v95, v94, v1
	v_sub_f16_e32 v118, v1, v89
	v_add_f16_e32 v1, v1, v89
	v_fma_f16 v64, v100, v41, -v64
	v_fma_f16 v1, v1, -0.5, v94
	v_add_f16_e32 v94, v63, v64
	v_add_f16_e32 v95, v95, v89
	;; [unrolled: 1-line block ×3, first 2 shown]
	v_sub_f16_e32 v63, v63, v64
	v_pack_b32_f16 v0, v65, v0
	v_fma_f16 v65, v94, -0.5, v98
	v_add_f16_e32 v89, v89, v64
	ds_write_b32 v219, v0 offset:648
	v_mad_legacy_u16 v0, v67, s16, v85
	v_fma_f16 v67, v118, s2, v65
	v_fma_f16 v85, v63, s3, v1
	v_pack_b32_f16 v64, v89, v95
	v_pack_b32_f16 v67, v67, v85
	v_lshlrev_b32_e32 v220, 2, v0
	ds_write2_b32 v220, v64, v67 offset1:81
	v_lshrrev_b32_e32 v0, 16, v101
	v_mul_f16_sdwa v67, v101, v47 dst_sel:DWORD dst_unused:UNUSED_PAD src0_sel:DWORD src1_sel:WORD_1
	v_mul_f16_sdwa v64, v0, v47 dst_sel:DWORD dst_unused:UNUSED_PAD src0_sel:DWORD src1_sel:WORD_1
	v_fma_f16 v0, v0, v47, v67
	v_fma_f16 v1, v63, s2, v1
	v_lshrrev_b32_e32 v63, 16, v104
	v_mul_f16_sdwa v67, v104, v46 dst_sel:DWORD dst_unused:UNUSED_PAD src0_sel:DWORD src1_sel:WORD_1
	v_fma_f16 v67, v63, v46, v67
	v_mul_f16_sdwa v63, v63, v46 dst_sel:DWORD dst_unused:UNUSED_PAD src0_sel:DWORD src1_sel:WORD_1
	v_lshrrev_b32_e32 v89, 16, v99
	v_fma_f16 v64, v101, v47, -v64
	v_fma_f16 v63, v104, v46, -v63
	v_add_f16_e32 v95, v89, v67
	v_fma_f16 v65, v118, s3, v65
	v_add_f16_e32 v85, v63, v64
	v_add_f16_e32 v94, v99, v63
	;; [unrolled: 1-line block ×3, first 2 shown]
	v_sub_f16_e32 v98, v67, v0
	v_add_f16_e32 v0, v67, v0
	v_fma_f16 v85, v85, -0.5, v99
	v_fma_f16 v0, v0, -0.5, v89
	v_add_f16_e32 v67, v94, v64
	v_sub_f16_e32 v63, v63, v64
	v_pack_b32_f16 v1, v65, v1
	ds_write_b32 v220, v1 offset:648
	v_mad_legacy_u16 v1, v97, s16, v103
	v_pack_b32_f16 v64, v67, v95
	v_fma_f16 v65, v98, s2, v85
	v_fma_f16 v67, v63, s3, v0
	v_pack_b32_f16 v65, v65, v67
	v_lshlrev_b32_e32 v221, 2, v1
	ds_write2_b32 v221, v64, v65 offset1:81
	v_lshrrev_b32_e32 v1, 16, v105
	s_waitcnt vmcnt(4)
	v_mul_f16_sdwa v65, v105, v80 dst_sel:DWORD dst_unused:UNUSED_PAD src0_sel:DWORD src1_sel:WORD_1
	v_fma_f16 v0, v63, s2, v0
	v_lshrrev_b32_e32 v63, 16, v108
	v_mul_f16_sdwa v67, v108, v81 dst_sel:DWORD dst_unused:UNUSED_PAD src0_sel:DWORD src1_sel:WORD_1
	v_mul_f16_sdwa v64, v1, v80 dst_sel:DWORD dst_unused:UNUSED_PAD src0_sel:DWORD src1_sel:WORD_1
	v_fma_f16 v1, v1, v80, v65
	v_fma_f16 v65, v98, s3, v85
	;; [unrolled: 1-line block ×3, first 2 shown]
	v_lshrrev_b32_e32 v85, 16, v106
	v_mul_f16_sdwa v63, v63, v81 dst_sel:DWORD dst_unused:UNUSED_PAD src0_sel:DWORD src1_sel:WORD_1
	v_fma_f16 v64, v105, v80, -v64
	v_add_f16_e32 v89, v85, v1
	v_sub_f16_e32 v94, v1, v67
	v_add_f16_e32 v1, v1, v67
	v_fma_f16 v63, v108, v81, -v63
	v_add_f16_e32 v89, v89, v67
	v_fma_f16 v1, v1, -0.5, v85
	v_add_f16_e32 v67, v106, v64
	v_add_f16_e32 v85, v64, v63
	;; [unrolled: 1-line block ×3, first 2 shown]
	v_sub_f16_e32 v63, v64, v63
	v_pack_b32_f16 v0, v65, v0
	v_fma_f16 v65, v85, -0.5, v106
	ds_write_b32 v221, v0 offset:648
	v_mad_legacy_u16 v0, v88, s16, v125
	v_pack_b32_f16 v64, v67, v89
	v_fma_f16 v67, v94, s2, v65
	v_fma_f16 v85, v63, s3, v1
	v_pack_b32_f16 v67, v67, v85
	v_lshlrev_b32_e32 v222, 2, v0
	ds_write2_b32 v222, v64, v67 offset1:81
	v_lshrrev_b32_e32 v0, 16, v109
	s_waitcnt vmcnt(3)
	v_mul_f16_sdwa v67, v109, v83 dst_sel:DWORD dst_unused:UNUSED_PAD src0_sel:DWORD src1_sel:WORD_1
	v_mul_f16_sdwa v64, v0, v83 dst_sel:DWORD dst_unused:UNUSED_PAD src0_sel:DWORD src1_sel:WORD_1
	v_fma_f16 v0, v0, v83, v67
	v_fma_f16 v1, v63, s2, v1
	v_lshrrev_b32_e32 v63, 16, v110
	v_mul_f16_sdwa v67, v110, v82 dst_sel:DWORD dst_unused:UNUSED_PAD src0_sel:DWORD src1_sel:WORD_1
	v_fma_f16 v67, v63, v82, v67
	v_mul_f16_sdwa v63, v63, v82 dst_sel:DWORD dst_unused:UNUSED_PAD src0_sel:DWORD src1_sel:WORD_1
	v_lshrrev_b32_e32 v88, 16, v107
	v_fma_f16 v64, v109, v83, -v64
	v_fma_f16 v65, v94, s3, v65
	v_fma_f16 v63, v110, v82, -v63
	v_add_f16_e32 v94, v88, v67
	v_add_f16_e32 v85, v63, v64
	;; [unrolled: 1-line block ×4, first 2 shown]
	v_sub_f16_e32 v95, v67, v0
	v_add_f16_e32 v0, v67, v0
	v_fma_f16 v85, v85, -0.5, v107
	v_fma_f16 v0, v0, -0.5, v88
	v_add_f16_e32 v67, v89, v64
	v_sub_f16_e32 v63, v63, v64
	v_pack_b32_f16 v1, v65, v1
	ds_write_b32 v222, v1 offset:648
	v_mad_legacy_u16 v1, v127, s16, v128
	v_pack_b32_f16 v64, v67, v94
	v_fma_f16 v65, v95, s2, v85
	v_fma_f16 v67, v63, s3, v0
	v_pack_b32_f16 v65, v65, v67
	v_lshlrev_b32_e32 v223, 2, v1
	ds_write2_b32 v223, v64, v65 offset1:81
	v_lshrrev_b32_e32 v1, 16, v111
	s_waitcnt vmcnt(2)
	v_mul_f16_sdwa v65, v111, v86 dst_sel:DWORD dst_unused:UNUSED_PAD src0_sel:DWORD src1_sel:WORD_1
	v_fma_f16 v0, v63, s2, v0
	v_lshrrev_b32_e32 v63, 16, v114
	v_mul_f16_sdwa v67, v114, v87 dst_sel:DWORD dst_unused:UNUSED_PAD src0_sel:DWORD src1_sel:WORD_1
	v_mul_f16_sdwa v64, v1, v86 dst_sel:DWORD dst_unused:UNUSED_PAD src0_sel:DWORD src1_sel:WORD_1
	v_fma_f16 v1, v1, v86, v65
	v_fma_f16 v65, v95, s3, v85
	;; [unrolled: 1-line block ×3, first 2 shown]
	v_lshrrev_b32_e32 v85, 16, v112
	v_mul_f16_sdwa v63, v63, v87 dst_sel:DWORD dst_unused:UNUSED_PAD src0_sel:DWORD src1_sel:WORD_1
	v_fma_f16 v64, v111, v86, -v64
	v_add_f16_e32 v88, v85, v1
	v_sub_f16_e32 v89, v1, v67
	v_add_f16_e32 v1, v1, v67
	v_fma_f16 v63, v114, v87, -v63
	v_add_f16_e32 v88, v88, v67
	v_fma_f16 v1, v1, -0.5, v85
	v_add_f16_e32 v67, v112, v64
	v_add_f16_e32 v85, v64, v63
	;; [unrolled: 1-line block ×3, first 2 shown]
	v_sub_f16_e32 v63, v64, v63
	v_pack_b32_f16 v0, v65, v0
	v_fma_f16 v65, v85, -0.5, v112
	ds_write_b32 v223, v0 offset:648
	v_mad_legacy_u16 v0, v129, s16, v130
	v_pack_b32_f16 v64, v67, v88
	v_fma_f16 v67, v89, s2, v65
	v_fma_f16 v85, v63, s3, v1
	v_pack_b32_f16 v67, v67, v85
	v_lshlrev_b32_e32 v224, 2, v0
	ds_write2_b32 v224, v64, v67 offset1:81
	v_lshrrev_b32_e32 v0, 16, v115
	s_waitcnt vmcnt(1)
	v_mul_f16_sdwa v67, v115, v91 dst_sel:DWORD dst_unused:UNUSED_PAD src0_sel:DWORD src1_sel:WORD_1
	v_mul_f16_sdwa v64, v0, v91 dst_sel:DWORD dst_unused:UNUSED_PAD src0_sel:DWORD src1_sel:WORD_1
	v_fma_f16 v0, v0, v91, v67
	v_fma_f16 v1, v63, s2, v1
	v_lshrrev_b32_e32 v63, 16, v116
	v_mul_f16_sdwa v67, v116, v90 dst_sel:DWORD dst_unused:UNUSED_PAD src0_sel:DWORD src1_sel:WORD_1
	v_fma_f16 v67, v63, v90, v67
	v_mul_f16_sdwa v63, v63, v90 dst_sel:DWORD dst_unused:UNUSED_PAD src0_sel:DWORD src1_sel:WORD_1
	v_lshrrev_b32_e32 v88, 16, v113
	v_fma_f16 v64, v115, v91, -v64
	v_fma_f16 v63, v116, v90, -v63
	v_add_f16_e32 v94, v88, v67
	v_fma_f16 v65, v89, s3, v65
	v_add_f16_e32 v85, v63, v64
	v_add_f16_e32 v89, v113, v63
	;; [unrolled: 1-line block ×3, first 2 shown]
	v_sub_f16_e32 v95, v67, v0
	v_add_f16_e32 v0, v67, v0
	v_fma_f16 v85, v85, -0.5, v113
	v_fma_f16 v0, v0, -0.5, v88
	v_add_f16_e32 v67, v89, v64
	v_sub_f16_e32 v63, v63, v64
	v_pack_b32_f16 v1, v65, v1
	ds_write_b32 v224, v1 offset:648
	v_mad_legacy_u16 v1, v131, s16, v132
	v_pack_b32_f16 v64, v67, v94
	v_fma_f16 v65, v95, s2, v85
	v_fma_f16 v67, v63, s3, v0
	v_pack_b32_f16 v65, v65, v67
	v_lshlrev_b32_e32 v226, 2, v1
	ds_write2_b32 v226, v64, v65 offset1:81
	v_lshrrev_b32_e32 v1, 16, v117
	s_waitcnt vmcnt(0)
	v_mul_f16_sdwa v65, v117, v92 dst_sel:DWORD dst_unused:UNUSED_PAD src0_sel:DWORD src1_sel:WORD_1
	v_mul_f16_sdwa v64, v1, v92 dst_sel:DWORD dst_unused:UNUSED_PAD src0_sel:DWORD src1_sel:WORD_1
	v_fma_f16 v1, v1, v92, v65
	v_lshrrev_b32_e32 v65, 16, v135
	v_mul_f16_sdwa v67, v65, v93 dst_sel:DWORD dst_unused:UNUSED_PAD src0_sel:DWORD src1_sel:WORD_1
	v_mul_f16_sdwa v88, v135, v93 dst_sel:DWORD dst_unused:UNUSED_PAD src0_sel:DWORD src1_sel:WORD_1
	v_fma_f16 v64, v117, v92, -v64
	v_fma_f16 v67, v135, v93, -v67
	v_fma_f16 v65, v65, v93, v88
	v_fma_f16 v85, v95, s3, v85
	;; [unrolled: 1-line block ×3, first 2 shown]
	v_lshrrev_b32_e32 v88, 16, v62
	v_add_f16_e32 v63, v64, v67
	v_add_f16_e32 v89, v88, v1
	v_sub_f16_e32 v94, v1, v65
	v_add_f16_e32 v1, v1, v65
	v_pack_b32_f16 v0, v85, v0
	v_fma_f16 v63, v63, -0.5, v62
	v_add_f16_e32 v62, v62, v64
	v_fma_f16 v1, v1, -0.5, v88
	v_sub_f16_e32 v64, v64, v67
	ds_write_b32 v226, v0 offset:648
	v_mad_legacy_u16 v0, v133, s16, v134
	v_add_f16_e32 v89, v89, v65
	v_add_f16_e32 v62, v62, v67
	v_fma_f16 v65, v94, s2, v63
	v_fma_f16 v67, v64, s3, v1
	v_lshlrev_b32_e32 v227, 2, v0
	v_fma_f16 v0, v94, s3, v63
	v_fma_f16 v1, v64, s2, v1
	v_pack_b32_f16 v62, v62, v89
	v_pack_b32_f16 v65, v65, v67
	;; [unrolled: 1-line block ×3, first 2 shown]
	v_lshlrev_b32_e32 v88, 3, v140
	ds_write2_b32 v227, v62, v65 offset1:81
	ds_write_b32 v227, v0 offset:648
	s_waitcnt lgkmcnt(0)
	s_barrier
	global_load_dwordx2 v[64:65], v88, s[10:11] offset:960
	s_movk_i32 s7, 0xdb3
	v_mul_u32_u24_sdwa v0, v84, s7 dst_sel:DWORD dst_unused:UNUSED_PAD src0_sel:WORD_0 src1_sel:DWORD
	v_sub_u16_sdwa v1, v84, v0 dst_sel:DWORD dst_unused:UNUSED_PAD src0_sel:DWORD src1_sel:WORD_1
	v_lshrrev_b16_e32 v1, 1, v1
	v_add_u16_sdwa v0, v1, v0 dst_sel:DWORD dst_unused:UNUSED_PAD src0_sel:DWORD src1_sel:WORD_1
	v_mul_u32_u24_sdwa v1, v96, s7 dst_sel:DWORD dst_unused:UNUSED_PAD src0_sel:WORD_0 src1_sel:DWORD
	v_sub_u16_sdwa v62, v96, v1 dst_sel:DWORD dst_unused:UNUSED_PAD src0_sel:DWORD src1_sel:WORD_1
	v_lshrrev_b16_e32 v62, 1, v62
	v_add_u16_sdwa v1, v62, v1 dst_sel:DWORD dst_unused:UNUSED_PAD src0_sel:DWORD src1_sel:WORD_1
	;; [unrolled: 4-line block ×7, first 2 shown]
	v_lshrrev_b16_e32 v62, 7, v62
	v_mul_lo_u16_e32 v62, 0xf3, v62
	v_sub_u16_e32 v67, v126, v62
	ds_read2_b32 v[62:63], v179 offset0:8 offset1:251
	ds_read2_b32 v[104:105], v178 offset0:6 offset1:249
	ds_read2_b32 v[114:115], v236 offset1:243
	v_lshlrev_b16_e32 v94, 3, v67
	v_mov_b32_e32 v95, v237
	v_lshl_add_u64 v[98:99], s[10:11], 0, v[94:95]
	s_waitcnt lgkmcnt(2)
	v_lshrrev_b32_e32 v94, 16, v63
	s_waitcnt lgkmcnt(1)
	v_lshrrev_b32_e32 v100, 16, v104
	;; [unrolled: 2-line block ×3, first 2 shown]
	v_lshrrev_b16_e32 v0, 7, v0
	v_mul_lo_u16_e32 v0, 0xf3, v0
	v_sub_u16_e32 v0, v84, v0
	v_lshrrev_b16_e32 v97, 7, v97
	v_lshrrev_b16_e32 v103, 7, v103
	v_mul_lo_u16_e32 v97, 0xf3, v97
	v_mul_lo_u16_e32 v103, 0xf3, v103
	v_sub_u16_e32 v97, v122, v97
	v_sub_u16_e32 v103, v124, v103
	v_lshrrev_b16_e32 v1, 7, v1
	v_lshrrev_b16_e32 v85, 7, v85
	;; [unrolled: 1-line block ×3, first 2 shown]
	v_mul_lo_u16_e32 v1, 0xf3, v1
	v_mul_lo_u16_e32 v85, 0xf3, v85
	v_mul_lo_u16_e32 v89, 0xf3, v89
	v_sub_u16_e32 v1, v96, v1
	v_sub_u16_e32 v85, v102, v85
	;; [unrolled: 1-line block ×3, first 2 shown]
	v_lshlrev_b32_e32 v225, 2, v89
	v_lshlrev_b32_e32 v141, 2, v97
	;; [unrolled: 1-line block ×3, first 2 shown]
	s_movk_i32 s7, 0x6799
	v_lshlrev_b32_e32 v96, 3, v96
	s_waitcnt vmcnt(0)
	v_mul_f16_sdwa v95, v63, v64 dst_sel:DWORD dst_unused:UNUSED_PAD src0_sel:DWORD src1_sel:WORD_1
	v_fma_f16 v95, v94, v64, v95
	v_mul_f16_sdwa v101, v104, v65 dst_sel:DWORD dst_unused:UNUSED_PAD src0_sel:DWORD src1_sel:WORD_1
	v_mul_f16_sdwa v94, v94, v64 dst_sel:DWORD dst_unused:UNUSED_PAD src0_sel:DWORD src1_sel:WORD_1
	v_fma_f16 v101, v100, v65, v101
	v_fma_f16 v63, v63, v64, -v94
	v_mul_f16_sdwa v94, v100, v65 dst_sel:DWORD dst_unused:UNUSED_PAD src0_sel:DWORD src1_sel:WORD_1
	v_add_f16_e32 v107, v106, v95
	v_sub_f16_e32 v121, v95, v101
	v_add_f16_e32 v95, v95, v101
	v_fma_f16 v94, v104, v65, -v94
	v_fma_f16 v123, v95, -0.5, v106
	v_add_f16_e32 v95, v114, v63
	v_add_f16_e32 v100, v63, v94
	;; [unrolled: 1-line block ×4, first 2 shown]
	v_sub_f16_e32 v63, v63, v94
	v_fma_f16 v114, v100, -0.5, v114
	v_pack_b32_f16 v104, v95, v107
	v_fma_f16 v94, v121, s2, v114
	v_fma_f16 v95, v63, s3, v123
	v_pack_b32_f16 v125, v94, v95
	v_lshlrev_b16_e32 v94, 3, v0
	v_mov_b32_e32 v95, v237
	v_lshl_add_u64 v[94:95], s[10:11], 0, v[94:95]
	global_load_dwordx2 v[94:95], v[94:95], off offset:960
	v_lshlrev_b16_e32 v100, 3, v97
	v_mov_b32_e32 v101, v237
	v_lshlrev_b16_e32 v106, 3, v103
	v_mov_b32_e32 v107, v237
	v_lshl_add_u64 v[100:101], s[10:11], 0, v[100:101]
	v_lshl_add_u64 v[106:107], s[10:11], 0, v[106:107]
	global_load_dwordx2 v[108:109], v[100:101], off offset:960
	global_load_dwordx2 v[112:113], v[98:99], off offset:960
	;; [unrolled: 1-line block ×3, first 2 shown]
	v_lshlrev_b16_e32 v98, 3, v1
	v_mov_b32_e32 v99, v237
	v_lshlrev_b16_e32 v100, 3, v85
	v_mov_b32_e32 v101, v237
	;; [unrolled: 2-line block ×3, first 2 shown]
	v_lshl_add_u64 v[98:99], s[10:11], 0, v[98:99]
	v_lshl_add_u64 v[100:101], s[10:11], 0, v[100:101]
	;; [unrolled: 1-line block ×3, first 2 shown]
	global_load_dwordx2 v[98:99], v[98:99], off offset:960
	s_nop 0
	global_load_dwordx2 v[100:101], v[100:101], off offset:960
	s_nop 0
	global_load_dwordx2 v[106:107], v[106:107], off offset:960
	ds_read_b32 v127, v236 offset:25272
	ds_read2_b32 v[116:117], v177 offset0:6 offset1:249
	ds_read2_b32 v[118:119], v175 offset0:6 offset1:249
	;; [unrolled: 1-line block ×9, first 2 shown]
	ds_read2_b32 v[240:241], v149 offset1:243
	s_waitcnt lgkmcnt(0)
	s_barrier
	ds_write2_b32 v236, v104, v125 offset1:243
	v_lshrrev_b32_e32 v104, 16, v105
	v_mul_f16_sdwa v125, v104, v65 dst_sel:DWORD dst_unused:UNUSED_PAD src0_sel:DWORD src1_sel:WORD_1
	v_fma_f16 v125, v105, v65, -v125
	v_mul_f16_sdwa v105, v105, v65 dst_sel:DWORD dst_unused:UNUSED_PAD src0_sel:DWORD src1_sel:WORD_1
	v_fma_f16 v104, v104, v65, v105
	v_fma_f16 v105, v121, s3, v114
	v_lshrrev_b32_e32 v114, 16, v116
	v_mul_f16_sdwa v121, v116, v64 dst_sel:DWORD dst_unused:UNUSED_PAD src0_sel:DWORD src1_sel:WORD_1
	v_fma_f16 v121, v114, v64, v121
	v_mul_f16_sdwa v114, v114, v64 dst_sel:DWORD dst_unused:UNUSED_PAD src0_sel:DWORD src1_sel:WORD_1
	v_fma_f16 v114, v116, v64, -v114
	v_add_f16_e32 v116, v114, v125
	v_fma_f16 v63, v63, s2, v123
	v_fma_f16 v116, v116, -0.5, v115
	v_lshrrev_b32_e32 v123, 16, v115
	v_add_f16_e32 v115, v115, v114
	v_pack_b32_f16 v63, v105, v63
	v_add_f16_e32 v105, v115, v125
	v_add_f16_e32 v115, v123, v121
	;; [unrolled: 1-line block ×3, first 2 shown]
	v_pack_b32_f16 v105, v105, v115
	ds_write2_b32 v175, v63, v105 offset0:6 offset1:249
	v_sub_f16_e32 v63, v121, v104
	v_add_f16_e32 v104, v121, v104
	v_fma_f16 v104, v104, -0.5, v123
	v_sub_f16_e32 v114, v114, v125
	v_fma_f16 v105, v63, s2, v116
	v_fma_f16 v63, v63, s3, v116
	;; [unrolled: 1-line block ×4, first 2 shown]
	v_pack_b32_f16 v105, v105, v115
	v_pack_b32_f16 v63, v63, v104
	ds_write2_b32 v167, v105, v63 offset0:12 offset1:255
	v_lshrrev_b32_e32 v63, 16, v117
	v_lshrrev_b32_e32 v115, 16, v118
	v_lshlrev_b32_e32 v0, 2, v0
	v_add_u32_e32 v3, 0x16c0, v0
	v_mov_b32_e32 v2, v0
	v_lshrrev_b32_e32 v0, 16, v129
	v_lshrrev_b32_e32 v121, 16, v119
	v_lshlrev_b32_e32 v1, 2, v1
	v_add_u32_e32 v4, 0x2200, v1
	v_accvgpr_write_b32 a5, v3
	v_accvgpr_write_b32 a6, v4
	v_lshrrev_b32_e32 v89, 16, v137
	v_lshrrev_b32_e32 v97, 16, v239
	;; [unrolled: 1-line block ×3, first 2 shown]
	v_accvgpr_write_b32 a11, v2
	s_waitcnt vmcnt(6)
	v_mul_f16_sdwa v105, v117, v94 dst_sel:DWORD dst_unused:UNUSED_PAD src0_sel:DWORD src1_sel:WORD_1
	v_mul_f16_sdwa v104, v63, v94 dst_sel:DWORD dst_unused:UNUSED_PAD src0_sel:DWORD src1_sel:WORD_1
	v_fma_f16 v63, v63, v94, v105
	v_lshrrev_b32_e32 v105, 16, v128
	v_mul_f16_sdwa v114, v128, v95 dst_sel:DWORD dst_unused:UNUSED_PAD src0_sel:DWORD src1_sel:WORD_1
	v_fma_f16 v104, v117, v94, -v104
	v_fma_f16 v114, v105, v95, v114
	v_add_f16_e32 v116, v115, v63
	v_mul_f16_sdwa v105, v105, v95 dst_sel:DWORD dst_unused:UNUSED_PAD src0_sel:DWORD src1_sel:WORD_1
	v_add_f16_e32 v116, v116, v114
	v_sub_f16_e32 v117, v63, v114
	v_add_f16_e32 v63, v63, v114
	v_fma_f16 v105, v128, v95, -v105
	v_add_f16_e32 v114, v118, v104
	v_fma_f16 v63, v63, -0.5, v115
	v_add_f16_e32 v114, v114, v105
	v_add_f16_e32 v115, v104, v105
	v_sub_f16_e32 v104, v104, v105
	v_pack_b32_f16 v105, v114, v116
	v_fma_f16 v114, v115, -0.5, v118
	v_fma_f16 v115, v117, s2, v114
	v_fma_f16 v116, v104, s3, v63
	v_pack_b32_f16 v115, v115, v116
	ds_write2_b32 v3, v105, v115 offset0:2 offset1:245
	s_waitcnt vmcnt(2)
	v_mul_f16_sdwa v115, v129, v99 dst_sel:DWORD dst_unused:UNUSED_PAD src0_sel:DWORD src1_sel:WORD_1
	v_mul_f16_sdwa v105, v0, v99 dst_sel:DWORD dst_unused:UNUSED_PAD src0_sel:DWORD src1_sel:WORD_1
	v_fma_f16 v0, v0, v99, v115
	v_lshrrev_b32_e32 v115, 16, v130
	v_mul_f16_sdwa v116, v130, v98 dst_sel:DWORD dst_unused:UNUSED_PAD src0_sel:DWORD src1_sel:WORD_1
	v_fma_f16 v116, v115, v98, v116
	v_mul_f16_sdwa v115, v115, v98 dst_sel:DWORD dst_unused:UNUSED_PAD src0_sel:DWORD src1_sel:WORD_1
	v_fma_f16 v105, v129, v99, -v105
	v_fma_f16 v115, v130, v98, -v115
	v_add_f16_e32 v118, v115, v105
	v_add_f16_e32 v123, v121, v116
	v_fma_f16 v118, v118, -0.5, v119
	v_add_f16_e32 v119, v119, v115
	v_add_f16_e32 v123, v123, v0
	v_sub_f16_e32 v125, v116, v0
	v_add_f16_e32 v0, v116, v0
	v_fma_f16 v0, v0, -0.5, v121
	v_add_f16_e32 v116, v119, v105
	v_sub_f16_e32 v105, v115, v105
	v_pack_b32_f16 v115, v116, v123
	v_fma_f16 v116, v125, s2, v118
	v_fma_f16 v119, v105, s3, v0
	v_pack_b32_f16 v116, v116, v119
	v_mov_b32_e32 v3, v1
	ds_write2_b32 v4, v115, v116 offset0:11 offset1:254
	v_lshrrev_b32_e32 v1, 16, v131
	s_waitcnt vmcnt(1)
	v_mul_f16_sdwa v116, v131, v100 dst_sel:DWORD dst_unused:UNUSED_PAD src0_sel:DWORD src1_sel:WORD_1
	v_mul_f16_sdwa v115, v1, v100 dst_sel:DWORD dst_unused:UNUSED_PAD src0_sel:DWORD src1_sel:WORD_1
	v_fma_f16 v1, v1, v100, v116
	v_lshrrev_b32_e32 v116, 16, v134
	v_mul_f16_sdwa v119, v134, v101 dst_sel:DWORD dst_unused:UNUSED_PAD src0_sel:DWORD src1_sel:WORD_1
	v_lshrrev_b32_e32 v121, 16, v132
	v_fma_f16 v115, v131, v100, -v115
	v_fma_f16 v119, v116, v101, v119
	v_add_f16_e32 v123, v121, v1
	v_mul_f16_sdwa v116, v116, v101 dst_sel:DWORD dst_unused:UNUSED_PAD src0_sel:DWORD src1_sel:WORD_1
	v_add_f16_e32 v123, v123, v119
	v_sub_f16_e32 v128, v1, v119
	v_add_f16_e32 v1, v1, v119
	v_fma_f16 v116, v134, v101, -v116
	v_add_f16_e32 v119, v132, v115
	v_fma_f16 v1, v1, -0.5, v121
	v_add_f16_e32 v119, v119, v116
	v_add_f16_e32 v121, v115, v116
	v_sub_f16_e32 v115, v115, v116
	v_pack_b32_f16 v116, v119, v123
	v_fma_f16 v119, v121, -0.5, v132
	v_fma_f16 v121, v128, s2, v119
	v_fma_f16 v123, v115, s3, v1
	v_lshlrev_b32_e32 v4, 2, v85
	v_pack_b32_f16 v121, v121, v123
	v_add_u32_e32 v6, 0x2d80, v4
	ds_write2_b32 v6, v116, v121 offset0:4 offset1:247
	v_lshrrev_b32_e32 v85, 16, v135
	s_waitcnt vmcnt(0)
	v_mul_f16_sdwa v121, v135, v107 dst_sel:DWORD dst_unused:UNUSED_PAD src0_sel:DWORD src1_sel:WORD_1
	v_mul_f16_sdwa v116, v85, v107 dst_sel:DWORD dst_unused:UNUSED_PAD src0_sel:DWORD src1_sel:WORD_1
	v_fma_f16 v85, v85, v107, v121
	v_lshrrev_b32_e32 v121, 16, v136
	v_mul_f16_sdwa v123, v136, v106 dst_sel:DWORD dst_unused:UNUSED_PAD src0_sel:DWORD src1_sel:WORD_1
	v_fma_f16 v123, v121, v106, v123
	v_mul_f16_sdwa v121, v121, v106 dst_sel:DWORD dst_unused:UNUSED_PAD src0_sel:DWORD src1_sel:WORD_1
	v_fma_f16 v116, v135, v107, -v116
	v_fma_f16 v121, v136, v106, -v121
	v_lshrrev_b32_e32 v130, 16, v133
	v_add_f16_e32 v129, v121, v116
	v_add_f16_e32 v132, v130, v123
	v_fma_f16 v129, v129, -0.5, v133
	v_add_f16_e32 v131, v133, v121
	v_add_f16_e32 v132, v132, v85
	v_sub_f16_e32 v133, v123, v85
	v_add_f16_e32 v85, v123, v85
	v_fma_f16 v85, v85, -0.5, v130
	v_add_f16_e32 v123, v131, v116
	v_sub_f16_e32 v116, v121, v116
	v_pack_b32_f16 v121, v123, v132
	v_fma_f16 v123, v133, s2, v129
	v_fma_f16 v130, v116, s3, v85
	v_accvgpr_write_b32 a7, v6
	v_pack_b32_f16 v123, v123, v130
	v_add_u32_e32 v6, 0x38e0, v225
	ds_write2_b32 v6, v121, v123 offset0:5 offset1:248
	v_mul_f16_sdwa v123, v137, v108 dst_sel:DWORD dst_unused:UNUSED_PAD src0_sel:DWORD src1_sel:WORD_1
	v_mul_f16_sdwa v121, v89, v108 dst_sel:DWORD dst_unused:UNUSED_PAD src0_sel:DWORD src1_sel:WORD_1
	v_fma_f16 v89, v89, v108, v123
	v_lshrrev_b32_e32 v123, 16, v238
	v_mul_f16_sdwa v130, v238, v109 dst_sel:DWORD dst_unused:UNUSED_PAD src0_sel:DWORD src1_sel:WORD_1
	v_lshrrev_b32_e32 v131, 16, v138
	v_fma_f16 v121, v137, v108, -v121
	v_fma_f16 v130, v123, v109, v130
	v_add_f16_e32 v132, v131, v89
	v_mul_f16_sdwa v123, v123, v109 dst_sel:DWORD dst_unused:UNUSED_PAD src0_sel:DWORD src1_sel:WORD_1
	v_add_f16_e32 v132, v132, v130
	v_sub_f16_e32 v134, v89, v130
	v_add_f16_e32 v89, v89, v130
	v_fma_f16 v123, v238, v109, -v123
	v_add_f16_e32 v130, v138, v121
	v_fma_f16 v89, v89, -0.5, v131
	v_add_f16_e32 v130, v130, v123
	v_add_f16_e32 v131, v121, v123
	v_sub_f16_e32 v121, v121, v123
	v_pack_b32_f16 v123, v130, v132
	v_fma_f16 v130, v131, -0.5, v138
	v_fma_f16 v131, v134, s2, v130
	v_fma_f16 v132, v121, s3, v89
	v_pack_b32_f16 v131, v131, v132
	v_add_u32_e32 v238, 0x4440, v141
	ds_write2_b32 v238, v123, v131 offset0:6 offset1:249
	v_mul_f16_sdwa v131, v239, v111 dst_sel:DWORD dst_unused:UNUSED_PAD src0_sel:DWORD src1_sel:WORD_1
	v_mul_f16_sdwa v123, v97, v111 dst_sel:DWORD dst_unused:UNUSED_PAD src0_sel:DWORD src1_sel:WORD_1
	v_fma_f16 v97, v97, v111, v131
	v_lshrrev_b32_e32 v131, 16, v240
	v_mul_f16_sdwa v132, v240, v110 dst_sel:DWORD dst_unused:UNUSED_PAD src0_sel:DWORD src1_sel:WORD_1
	v_fma_f16 v132, v131, v110, v132
	v_mul_f16_sdwa v131, v131, v110 dst_sel:DWORD dst_unused:UNUSED_PAD src0_sel:DWORD src1_sel:WORD_1
	v_fma_f16 v123, v239, v111, -v123
	v_fma_f16 v131, v240, v110, -v131
	v_lshrrev_b32_e32 v136, 16, v139
	v_add_f16_e32 v135, v131, v123
	v_add_f16_e32 v138, v136, v132
	v_fma_f16 v135, v135, -0.5, v139
	v_add_f16_e32 v137, v139, v131
	v_add_f16_e32 v138, v138, v97
	v_sub_f16_e32 v139, v132, v97
	v_add_f16_e32 v97, v132, v97
	v_fma_f16 v97, v97, -0.5, v136
	v_add_f16_e32 v132, v137, v123
	v_sub_f16_e32 v123, v131, v123
	v_pack_b32_f16 v131, v132, v138
	v_fma_f16 v132, v139, s2, v135
	v_fma_f16 v136, v123, s3, v97
	v_pack_b32_f16 v132, v132, v136
	v_add_u32_e32 v239, 0x4fa0, v234
	ds_write2_b32 v239, v131, v132 offset0:7 offset1:250
	v_mul_f16_sdwa v132, v241, v112 dst_sel:DWORD dst_unused:UNUSED_PAD src0_sel:DWORD src1_sel:WORD_1
	v_mul_f16_sdwa v131, v103, v112 dst_sel:DWORD dst_unused:UNUSED_PAD src0_sel:DWORD src1_sel:WORD_1
	v_fma_f16 v103, v103, v112, v132
	v_lshrrev_b32_e32 v132, 16, v127
	v_mul_f16_sdwa v136, v132, v113 dst_sel:DWORD dst_unused:UNUSED_PAD src0_sel:DWORD src1_sel:WORD_1
	v_fma_f16 v136, v127, v113, -v136
	v_mul_f16_sdwa v127, v127, v113 dst_sel:DWORD dst_unused:UNUSED_PAD src0_sel:DWORD src1_sel:WORD_1
	v_fma_f16 v131, v241, v112, -v131
	v_fma_f16 v127, v132, v113, v127
	v_lshrrev_b32_e32 v137, 16, v62
	v_add_f16_e32 v132, v131, v136
	v_add_f16_e32 v138, v137, v103
	v_sub_f16_e32 v241, v103, v127
	v_add_f16_e32 v103, v103, v127
	v_accvgpr_write_b32 a8, v6
	v_fma_f16 v132, v132, -0.5, v62
	v_add_f16_e32 v62, v62, v131
	v_add_f16_e32 v138, v138, v127
	v_fma_f16 v103, v103, -0.5, v137
	v_sub_f16_e32 v127, v131, v136
	v_lshlrev_b32_e32 v6, 2, v67
	v_fma_f16 v67, v125, s3, v118
	v_fma_f16 v0, v105, s2, v0
	v_add_f16_e32 v62, v62, v136
	v_fma_f16 v131, v241, s2, v132
	v_fma_f16 v136, v127, s3, v103
	;; [unrolled: 1-line block ×5, first 2 shown]
	v_pack_b32_f16 v0, v67, v0
	v_pack_b32_f16 v62, v62, v138
	v_pack_b32_f16 v131, v131, v136
	v_add_u32_e32 v240, 0x5b00, v6
	v_fma_f16 v105, v133, s3, v129
	v_fma_f16 v85, v116, s2, v85
	ds_write_b32 v3, v0 offset:10692
	v_pack_b32_f16 v0, v104, v1
	ds_write2_b32 v240, v62, v131 offset0:8 offset1:251
	v_fma_f16 v62, v117, s3, v114
	v_fma_f16 v114, v134, s3, v130
	;; [unrolled: 1-line block ×3, first 2 shown]
	ds_write_b32 v4, v0 offset:13608
	v_pack_b32_f16 v0, v105, v85
	v_fma_f16 v115, v139, s3, v135
	v_fma_f16 v97, v123, s2, v97
	ds_write_b32 v225, v0 offset:16524
	v_pack_b32_f16 v0, v114, v89
	v_fma_f16 v116, v241, s3, v132
	v_fma_f16 v103, v127, s2, v103
	ds_write_b32 v141, v0 offset:19440
	v_pack_b32_f16 v0, v115, v97
	v_pack_b32_f16 v62, v62, v63
	ds_write_b32 v234, v0 offset:22356
	v_pack_b32_f16 v0, v116, v103
	v_lshlrev_b32_e32 v128, 3, v66
	ds_write_b32 v2, v62 offset:7776
	ds_write_b32 v6, v0 offset:25272
	s_waitcnt lgkmcnt(0)
	s_barrier
	global_load_dwordx2 v[62:63], v88, s[10:11] offset:2904
	global_load_dwordx2 v[66:67], v128, s[10:11] offset:2904
	ds_read2_b32 v[104:105], v178 offset0:6 offset1:249
	v_lshlrev_b32_e32 v132, 3, v84
	ds_read2_b32 v[130:131], v179 offset0:8 offset1:251
	ds_read2_b32 v[242:243], v177 offset0:6 offset1:249
	v_accvgpr_write_b32 a10, v3
	s_waitcnt lgkmcnt(2)
	v_lshrrev_b32_e32 v85, 16, v105
	v_lshrrev_b32_e32 v0, 16, v104
	s_waitcnt lgkmcnt(1)
	v_lshrrev_b32_e32 v115, 16, v131
	v_accvgpr_write_b32 a9, v4
	s_waitcnt vmcnt(1)
	v_mul_f16_sdwa v1, v104, v63 dst_sel:DWORD dst_unused:UNUSED_PAD src0_sel:DWORD src1_sel:WORD_1
	s_waitcnt vmcnt(0)
	v_mul_f16_sdwa v97, v105, v67 dst_sel:DWORD dst_unused:UNUSED_PAD src0_sel:DWORD src1_sel:WORD_1
	v_mul_f16_sdwa v89, v85, v67 dst_sel:DWORD dst_unused:UNUSED_PAD src0_sel:DWORD src1_sel:WORD_1
	v_fma_f16 v97, v85, v67, v97
	v_mul_u32_u24_sdwa v85, v122, s7 dst_sel:DWORD dst_unused:UNUSED_PAD src0_sel:WORD_0 src1_sel:DWORD
	v_sub_u16_sdwa v103, v122, v85 dst_sel:DWORD dst_unused:UNUSED_PAD src0_sel:DWORD src1_sel:WORD_1
	v_lshrrev_b16_e32 v103, 1, v103
	v_fma_f16 v1, v0, v63, v1
	v_mul_f16_sdwa v0, v0, v63 dst_sel:DWORD dst_unused:UNUSED_PAD src0_sel:DWORD src1_sel:WORD_1
	v_add_u16_sdwa v103, v103, v85 dst_sel:DWORD dst_unused:UNUSED_PAD src0_sel:DWORD src1_sel:WORD_1
	v_mul_u32_u24_sdwa v85, v124, s7 dst_sel:DWORD dst_unused:UNUSED_PAD src0_sel:WORD_0 src1_sel:DWORD
	v_fma_f16 v0, v104, v63, -v0
	v_sub_u16_sdwa v104, v124, v85 dst_sel:DWORD dst_unused:UNUSED_PAD src0_sel:DWORD src1_sel:WORD_1
	v_lshrrev_b16_e32 v104, 1, v104
	v_fma_f16 v89, v105, v67, -v89
	v_add_u16_sdwa v114, v104, v85 dst_sel:DWORD dst_unused:UNUSED_PAD src0_sel:DWORD src1_sel:WORD_1
	global_load_dwordx2 v[104:105], v132, s[10:11] offset:2904
	v_mul_u32_u24_sdwa v85, v126, s7 dst_sel:DWORD dst_unused:UNUSED_PAD src0_sel:WORD_0 src1_sel:DWORD
	v_sub_u16_sdwa v84, v126, v85 dst_sel:DWORD dst_unused:UNUSED_PAD src0_sel:DWORD src1_sel:WORD_1
	v_lshrrev_b16_e32 v84, 1, v84
	v_add_u16_sdwa v118, v84, v85 dst_sel:DWORD dst_unused:UNUSED_PAD src0_sel:DWORD src1_sel:WORD_1
	ds_read2_b32 v[84:85], v236 offset1:243
	v_mul_f16_sdwa v116, v131, v62 dst_sel:DWORD dst_unused:UNUSED_PAD src0_sel:DWORD src1_sel:WORD_1
	v_fma_f16 v116, v115, v62, v116
	v_mul_f16_sdwa v115, v115, v62 dst_sel:DWORD dst_unused:UNUSED_PAD src0_sel:DWORD src1_sel:WORD_1
	v_fma_f16 v115, v131, v62, -v115
	v_add_f16_e32 v117, v115, v0
	s_waitcnt lgkmcnt(0)
	v_fma_f16 v117, v117, -0.5, v84
	v_sub_f16_e32 v119, v116, v1
	v_fma_f16 v121, v119, s2, v117
	v_fma_f16 v123, v119, s3, v117
	v_lshrrev_b32_e32 v117, 16, v84
	v_add_f16_e32 v119, v117, v116
	v_add_f16_e32 v119, v119, v1
	;; [unrolled: 1-line block ×4, first 2 shown]
	v_fma_f16 v1, v1, -0.5, v117
	v_add_f16_e32 v84, v84, v0
	v_sub_f16_e32 v0, v115, v0
	v_fma_f16 v115, v0, s3, v1
	v_fma_f16 v0, v0, s2, v1
	v_lshrrev_b32_e32 v1, 16, v242
	v_mul_f16_sdwa v116, v242, v66 dst_sel:DWORD dst_unused:UNUSED_PAD src0_sel:DWORD src1_sel:WORD_1
	v_lshrrev_b16_e32 v114, 9, v114
	v_fma_f16 v125, v1, v66, v116
	v_mul_f16_sdwa v1, v1, v66 dst_sel:DWORD dst_unused:UNUSED_PAD src0_sel:DWORD src1_sel:WORD_1
	v_mul_lo_u16_e32 v114, 0x2d9, v114
	v_fma_f16 v1, v242, v66, -v1
	v_sub_u16_e32 v241, v124, v114
	v_add_f16_e32 v116, v1, v89
	v_pack_b32_f16 v121, v121, v115
	v_lshlrev_b16_e32 v114, 3, v241
	v_mov_b32_e32 v115, v237
	v_fma_f16 v127, v116, -0.5, v85
	v_pack_b32_f16 v133, v84, v119
	v_lshrrev_b16_e32 v84, 9, v103
	v_lshl_add_u64 v[116:117], s[10:11], 0, v[114:115]
	v_lshrrev_b16_e32 v114, 9, v118
	v_mul_lo_u16_e32 v84, 0x2d9, v84
	v_mul_lo_u16_e32 v114, 0x2d9, v114
	v_sub_u16_e32 v103, v122, v84
	v_sub_u16_e32 v254, v126, v114
	v_lshrrev_b32_e32 v129, 16, v85
	v_add_f16_e32 v131, v85, v1
	v_lshlrev_b16_e32 v84, 3, v103
	v_mov_b32_e32 v85, v237
	v_lshlrev_b16_e32 v114, 3, v254
	v_lshl_add_u64 v[84:85], s[10:11], 0, v[84:85]
	v_lshl_add_u64 v[118:119], s[10:11], 0, v[114:115]
	global_load_dwordx2 v[114:115], v[84:85], off offset:2904
	s_nop 0
	global_load_dwordx2 v[116:117], v[116:117], off offset:2904
	s_nop 0
	global_load_dwordx2 v[118:119], v[118:119], off offset:2904
	ds_read_b32 v242, v236 offset:25272
	ds_read2_b32 v[244:245], v175 offset0:6 offset1:249
	ds_read2_b32 v[246:247], v176 offset0:12 offset1:255
	;; [unrolled: 1-line block ×8, first 2 shown]
	ds_read2_b32 v[134:135], v149 offset1:243
	s_waitcnt lgkmcnt(0)
	s_barrier
	ds_write_b32 v236, v121 offset:2916
	v_pack_b32_f16 v0, v123, v0
	v_add_f16_e32 v121, v129, v125
	ds_write_b32 v236, v0 offset:5832
	v_add_f16_e32 v0, v131, v89
	v_add_f16_e32 v121, v121, v97
	v_pack_b32_f16 v0, v0, v121
	ds_write2_b32 v236, v133, v0 offset1:243
	v_lshrrev_b32_e32 v0, 16, v243
	v_sub_f16_e32 v1, v1, v89
	s_mov_b32 s7, 0xa000
	s_waitcnt vmcnt(3)
	v_mul_f16_sdwa v123, v243, v104 dst_sel:DWORD dst_unused:UNUSED_PAD src0_sel:DWORD src1_sel:WORD_1
	v_mul_f16_sdwa v121, v0, v104 dst_sel:DWORD dst_unused:UNUSED_PAD src0_sel:DWORD src1_sel:WORD_1
	v_fma_f16 v0, v0, v104, v123
	v_sub_f16_e32 v123, v125, v97
	v_add_f16_e32 v97, v125, v97
	v_fma_f16 v97, v97, -0.5, v129
	v_fma_f16 v131, v123, s2, v127
	v_fma_f16 v123, v123, s3, v127
	;; [unrolled: 1-line block ×4, first 2 shown]
	v_lshrrev_b32_e32 v97, 16, v246
	v_mul_f16_sdwa v125, v246, v105 dst_sel:DWORD dst_unused:UNUSED_PAD src0_sel:DWORD src1_sel:WORD_1
	v_lshrrev_b32_e32 v127, 16, v244
	v_fma_f16 v121, v243, v104, -v121
	v_fma_f16 v125, v97, v105, v125
	v_add_f16_e32 v129, v127, v0
	v_mul_f16_sdwa v97, v97, v105 dst_sel:DWORD dst_unused:UNUSED_PAD src0_sel:DWORD src1_sel:WORD_1
	v_add_f16_e32 v129, v129, v125
	v_sub_f16_e32 v133, v0, v125
	v_add_f16_e32 v0, v0, v125
	v_fma_f16 v97, v246, v105, -v97
	v_add_f16_e32 v125, v244, v121
	v_add_f16_e32 v125, v125, v97
	v_pack_b32_f16 v1, v123, v1
	v_fma_f16 v0, v0, -0.5, v127
	v_add_f16_e32 v127, v121, v97
	ds_write_b32 v236, v1 offset:6804
	v_pack_b32_f16 v1, v125, v129
	v_sub_f16_e32 v97, v121, v97
	ds_write_b32 v236, v1 offset:1944
	v_fma_f16 v1, v127, -0.5, v244
	v_fma_f16 v121, v133, s2, v1
	v_fma_f16 v123, v97, s3, v0
	v_pack_b32_f16 v89, v131, v89
	v_pack_b32_f16 v121, v121, v123
	ds_write2_b32 v167, v89, v121 offset0:12 offset1:255
	v_lshrrev_b32_e32 v89, 16, v247
	v_mul_f16_sdwa v123, v247, v63 dst_sel:DWORD dst_unused:UNUSED_PAD src0_sel:DWORD src1_sel:WORD_1
	v_mul_f16_sdwa v121, v89, v63 dst_sel:DWORD dst_unused:UNUSED_PAD src0_sel:DWORD src1_sel:WORD_1
	v_fma_f16 v89, v89, v63, v123
	v_fma_f16 v0, v97, s2, v0
	v_lshrrev_b32_e32 v97, 16, v248
	v_mul_f16_sdwa v123, v248, v62 dst_sel:DWORD dst_unused:UNUSED_PAD src0_sel:DWORD src1_sel:WORD_1
	v_fma_f16 v123, v97, v62, v123
	v_mul_f16_sdwa v97, v97, v62 dst_sel:DWORD dst_unused:UNUSED_PAD src0_sel:DWORD src1_sel:WORD_1
	v_fma_f16 v97, v248, v62, -v97
	v_fma_f16 v121, v247, v63, -v121
	v_fma_f16 v1, v133, s3, v1
	v_lshrrev_b32_e32 v127, 16, v245
	v_add_f16_e32 v129, v245, v97
	v_pack_b32_f16 v0, v1, v0
	v_add_f16_e32 v1, v129, v121
	v_add_f16_e32 v129, v127, v123
	;; [unrolled: 1-line block ×3, first 2 shown]
	v_pack_b32_f16 v1, v1, v129
	ds_write2_b32 v179, v0, v1 offset0:8 offset1:251
	v_lshrrev_b32_e32 v0, 16, v249
	v_mul_f16_sdwa v129, v249, v66 dst_sel:DWORD dst_unused:UNUSED_PAD src0_sel:DWORD src1_sel:WORD_1
	v_add_f16_e32 v125, v97, v121
	v_mul_f16_sdwa v1, v0, v66 dst_sel:DWORD dst_unused:UNUSED_PAD src0_sel:DWORD src1_sel:WORD_1
	v_fma_f16 v0, v0, v66, v129
	v_sub_f16_e32 v129, v123, v89
	v_add_f16_e32 v89, v123, v89
	v_fma_f16 v125, v125, -0.5, v245
	v_fma_f16 v89, v89, -0.5, v127
	v_sub_f16_e32 v97, v97, v121
	v_fma_f16 v121, v129, s2, v125
	v_fma_f16 v123, v97, s3, v89
	v_pack_b32_f16 v121, v121, v123
	v_lshrrev_b32_e32 v123, 16, v252
	v_mul_f16_sdwa v127, v252, v67 dst_sel:DWORD dst_unused:UNUSED_PAD src0_sel:DWORD src1_sel:WORD_1
	v_fma_f16 v127, v123, v67, v127
	v_mul_f16_sdwa v123, v123, v67 dst_sel:DWORD dst_unused:UNUSED_PAD src0_sel:DWORD src1_sel:WORD_1
	v_fma_f16 v1, v249, v66, -v1
	v_fma_f16 v123, v252, v67, -v123
	v_add_f16_e32 v131, v1, v123
	v_lshrrev_b32_e32 v133, 16, v250
	v_add_f16_e32 v243, v0, v127
	v_fma_f16 v131, v131, -0.5, v250
	v_fma_f16 v243, v243, -0.5, v133
	v_sub_f16_e32 v244, v0, v127
	v_sub_f16_e32 v246, v1, v123
	v_fma_f16 v245, v244, s2, v131
	v_fma_f16 v247, v246, s3, v243
	v_add_f16_e32 v1, v250, v1
	v_add_f16_e32 v0, v133, v0
	v_pack_b32_f16 v245, v245, v247
	v_add_f16_e32 v1, v1, v123
	v_add_f16_e32 v0, v0, v127
	v_lshrrev_b32_e32 v123, 16, v138
	v_mul_f16_sdwa v127, v138, v104 dst_sel:DWORD dst_unused:UNUSED_PAD src0_sel:DWORD src1_sel:WORD_1
	ds_write2_b32 v170, v121, v245 offset0:4 offset1:247
	v_lshrrev_b32_e32 v121, 16, v253
	v_fma_f16 v127, v123, v104, v127
	v_mul_f16_sdwa v123, v123, v104 dst_sel:DWORD dst_unused:UNUSED_PAD src0_sel:DWORD src1_sel:WORD_1
	v_mul_f16_sdwa v245, v121, v105 dst_sel:DWORD dst_unused:UNUSED_PAD src0_sel:DWORD src1_sel:WORD_1
	;; [unrolled: 1-line block ×3, first 2 shown]
	v_fma_f16 v123, v138, v104, -v123
	v_fma_f16 v245, v253, v105, -v245
	v_fma_f16 v121, v121, v105, v247
	v_lshrrev_b32_e32 v138, 16, v251
	v_add_f16_e32 v247, v251, v123
	v_pack_b32_f16 v0, v1, v0
	v_add_f16_e32 v1, v247, v245
	v_add_f16_e32 v247, v138, v127
	v_add_f16_e32 v247, v247, v121
	v_pack_b32_f16 v1, v1, v247
	v_add_f16_e32 v133, v123, v245
	ds_write2_b32 v177, v0, v1 offset0:6 offset1:249
	v_fma_f16 v1, v97, s2, v89
	v_add_f16_e32 v97, v127, v121
	v_fma_f16 v133, v133, -0.5, v251
	v_fma_f16 v0, v129, s3, v125
	v_sub_f16_e32 v89, v127, v121
	v_fma_f16 v97, v97, -0.5, v138
	v_sub_f16_e32 v121, v123, v245
	v_pack_b32_f16 v0, v0, v1
	v_fma_f16 v1, v89, s2, v133
	v_fma_f16 v123, v121, s3, v97
	v_pack_b32_f16 v1, v1, v123
	ds_write2_b32 v158, v1, v0 offset0:10 offset1:253
	v_fma_f16 v0, v244, s3, v131
	v_fma_f16 v1, v246, s2, v243
	;; [unrolled: 1-line block ×4, first 2 shown]
	v_pack_b32_f16 v0, v0, v1
	v_pack_b32_f16 v1, v89, v97
	v_lshrrev_b32_e32 v123, 16, v137
	s_waitcnt vmcnt(1)
	v_mul_f16_sdwa v127, v137, v117 dst_sel:DWORD dst_unused:UNUSED_PAD src0_sel:DWORD src1_sel:WORD_1
	ds_write2_b32 v149, v0, v1 offset1:243
	v_lshrrev_b32_e32 v0, 16, v139
	v_mul_f16_sdwa v97, v139, v114 dst_sel:DWORD dst_unused:UNUSED_PAD src0_sel:DWORD src1_sel:WORD_1
	v_mul_f16_sdwa v125, v123, v117 dst_sel:DWORD dst_unused:UNUSED_PAD src0_sel:DWORD src1_sel:WORD_1
	v_fma_f16 v123, v123, v117, v127
	v_lshrrev_b32_e32 v127, 16, v134
	v_mul_f16_sdwa v129, v134, v116 dst_sel:DWORD dst_unused:UNUSED_PAD src0_sel:DWORD src1_sel:WORD_1
	v_mul_f16_sdwa v1, v0, v114 dst_sel:DWORD dst_unused:UNUSED_PAD src0_sel:DWORD src1_sel:WORD_1
	v_fma_f16 v0, v0, v114, v97
	v_lshrrev_b32_e32 v97, 16, v136
	v_mul_f16_sdwa v121, v136, v115 dst_sel:DWORD dst_unused:UNUSED_PAD src0_sel:DWORD src1_sel:WORD_1
	v_fma_f16 v129, v127, v116, v129
	v_mul_f16_sdwa v127, v127, v116 dst_sel:DWORD dst_unused:UNUSED_PAD src0_sel:DWORD src1_sel:WORD_1
	v_fma_f16 v121, v97, v115, v121
	v_mul_f16_sdwa v97, v97, v115 dst_sel:DWORD dst_unused:UNUSED_PAD src0_sel:DWORD src1_sel:WORD_1
	v_fma_f16 v127, v134, v116, -v127
	v_lshrrev_b32_e32 v131, 16, v135
	s_waitcnt vmcnt(0)
	v_mul_f16_sdwa v134, v135, v118 dst_sel:DWORD dst_unused:UNUSED_PAD src0_sel:DWORD src1_sel:WORD_1
	v_fma_f16 v1, v139, v114, -v1
	v_fma_f16 v97, v136, v115, -v97
	v_mul_f16_sdwa v133, v131, v118 dst_sel:DWORD dst_unused:UNUSED_PAD src0_sel:DWORD src1_sel:WORD_1
	v_fma_f16 v131, v131, v118, v134
	v_lshrrev_b32_e32 v134, 16, v242
	v_mul_f16_sdwa v136, v242, v119 dst_sel:DWORD dst_unused:UNUSED_PAD src0_sel:DWORD src1_sel:WORD_1
	v_fma_f16 v133, v135, v118, -v133
	v_mul_f16_sdwa v135, v134, v119 dst_sel:DWORD dst_unused:UNUSED_PAD src0_sel:DWORD src1_sel:WORD_1
	v_fma_f16 v134, v134, v119, v136
	v_add_f16_e32 v136, v1, v97
	v_fma_f16 v125, v137, v117, -v125
	v_fma_f16 v136, v136, -0.5, v84
	v_sub_f16_e32 v137, v0, v121
	v_fma_f16 v138, v137, s2, v136
	v_fma_f16 v136, v137, s3, v136
	v_lshrrev_b32_e32 v137, 16, v84
	v_add_f16_e32 v139, v137, v0
	v_add_f16_e32 v0, v0, v121
	v_fma_f16 v0, v0, -0.5, v137
	v_add_f16_e32 v84, v84, v1
	v_sub_f16_e32 v1, v1, v97
	v_add_f16_e32 v84, v84, v97
	v_fma_f16 v97, v1, s3, v0
	v_fma_f16 v0, v1, s2, v0
	v_add_f16_e32 v1, v127, v125
	v_add_f16_e32 v139, v139, v121
	v_fma_f16 v1, v1, -0.5, v85
	v_lshrrev_b32_e32 v121, 16, v85
	v_sub_f16_e32 v137, v129, v123
	v_fma_f16 v244, v137, s2, v1
	v_fma_f16 v1, v137, s3, v1
	v_add_f16_e32 v137, v121, v129
	v_add_f16_e32 v137, v137, v123
	;; [unrolled: 1-line block ×3, first 2 shown]
	v_fma_f16 v135, v242, v119, -v135
	v_add_f16_e32 v85, v85, v127
	v_fma_f16 v121, v123, -0.5, v121
	v_sub_f16_e32 v123, v127, v125
	v_add_f16_e32 v85, v85, v125
	v_fma_f16 v125, v123, s3, v121
	v_fma_f16 v121, v123, s2, v121
	v_add_f16_e32 v123, v133, v135
	v_lshlrev_b32_e32 v243, 2, v103
	v_pack_b32_f16 v0, v136, v0
	v_fma_f16 v123, v123, -0.5, v130
	v_lshrrev_b32_e32 v127, 16, v130
	v_add_f16_e32 v129, v130, v133
	v_sub_f16_e32 v130, v131, v134
	v_pack_b32_f16 v84, v84, v139
	ds_write_b32 v243, v0 offset:23328
	v_pack_b32_f16 v0, v85, v137
	v_lshlrev_b32_e32 v242, 2, v241
	v_fma_f16 v245, v130, s2, v123
	v_fma_f16 v123, v130, s3, v123
	v_add_f16_e32 v130, v127, v131
	v_add_f16_e32 v131, v131, v134
	ds_write_b32 v243, v84 offset:17496
	v_pack_b32_f16 v84, v138, v97
	ds_write_b32 v242, v0 offset:17496
	v_pack_b32_f16 v0, v244, v125
	v_mov_b32_e32 v89, v237
	v_add_f16_e32 v130, v130, v134
	v_fma_f16 v127, v131, -0.5, v127
	v_add_f16_e32 v131, v129, v135
	v_sub_f16_e32 v129, v133, v135
	ds_write_b32 v243, v84 offset:20412
	ds_write_b32 v242, v0 offset:20412
	v_pack_b32_f16 v0, v1, v121
	v_lshl_add_u64 v[88:89], s[10:11], 0, v[88:89]
	v_fma_f16 v133, v129, s3, v127
	ds_write_b32 v242, v0 offset:23328
	v_pack_b32_f16 v0, v131, v130
	v_lshlrev_b32_e32 v241, 2, v254
	v_add_co_u32_e32 v88, vcc, s6, v88
	v_fma_f16 v127, v129, s2, v127
	ds_write_b32 v241, v0 offset:17496
	v_pack_b32_f16 v0, v245, v133
	v_addc_co_u32_e32 v89, vcc, 0, v89, vcc
	v_mov_b32_e32 v129, v237
	ds_write_b32 v241, v0 offset:20412
	v_pack_b32_f16 v0, v123, v127
	ds_write_b32 v241, v0 offset:23328
	s_waitcnt lgkmcnt(0)
	s_barrier
	global_load_dwordx2 v[84:85], v[88:89], off offset:544
	v_lshl_add_u64 v[88:89], s[10:11], 0, v[128:129]
	v_add_co_u32_e32 v88, vcc, s6, v88
	v_mov_b32_e32 v133, v237
	s_nop 0
	v_addc_co_u32_e32 v89, vcc, 0, v89, vcc
	global_load_dwordx2 v[88:89], v[88:89], off offset:544
	v_lshl_add_u64 v[128:129], s[10:11], 0, v[132:133]
	v_add_co_u32_e32 v128, vcc, s6, v128
	v_mov_b32_e32 v97, v237
	s_nop 0
	v_addc_co_u32_e32 v129, vcc, 0, v129, vcc
	v_lshl_add_u64 v[96:97], s[10:11], 0, v[96:97]
	v_add_co_u32_e32 v130, vcc, s6, v96
	v_lshlrev_b32_e32 v96, 3, v102
	s_nop 0
	v_addc_co_u32_e32 v131, vcc, 0, v97, vcc
	v_mov_b32_e32 v97, v237
	v_lshl_add_u64 v[96:97], s[10:11], 0, v[96:97]
	v_add_co_u32_e32 v132, vcc, s6, v96
	v_lshlrev_b32_e32 v96, 3, v120
	s_nop 0
	v_addc_co_u32_e32 v133, vcc, 0, v97, vcc
	v_mov_b32_e32 v97, v237
	v_lshl_add_u64 v[96:97], s[10:11], 0, v[96:97]
	v_add_co_u32_e32 v134, vcc, s6, v96
	v_lshlrev_b32_e32 v96, 3, v122
	s_nop 0
	v_addc_co_u32_e32 v135, vcc, 0, v97, vcc
	v_mov_b32_e32 v97, v237
	v_lshl_add_u64 v[96:97], s[10:11], 0, v[96:97]
	v_add_co_u32_e32 v136, vcc, s6, v96
	v_lshlrev_b32_e32 v102, 3, v124
	s_nop 0
	v_addc_co_u32_e32 v137, vcc, 0, v97, vcc
	global_load_dwordx2 v[96:97], v[128:129], off offset:544
	v_mov_b32_e32 v103, v237
	v_lshl_add_u64 v[102:103], s[10:11], 0, v[102:103]
	v_add_co_u32_e32 v138, vcc, s6, v102
	v_lshlrev_b32_e32 v102, 3, v126
	s_nop 0
	v_addc_co_u32_e32 v139, vcc, 0, v103, vcc
	v_mov_b32_e32 v103, v237
	v_lshl_add_u64 v[102:103], s[10:11], 0, v[102:103]
	v_add_co_u32_e32 v128, vcc, s6, v102
	ds_read2_b32 v[120:121], v178 offset0:6 offset1:249
	s_nop 0
	v_addc_co_u32_e32 v129, vcc, 0, v103, vcc
	global_load_dwordx2 v[102:103], v[130:131], off offset:544
	ds_read2_b32 v[130:131], v179 offset0:8 offset1:251
	s_waitcnt lgkmcnt(1)
	v_lshrrev_b32_e32 v0, 16, v120
	v_lshrrev_b32_e32 v3, 16, v121
	s_mov_b32 s6, 0x8000
	s_movk_i32 s10, 0x40f
	s_waitcnt lgkmcnt(0)
	v_lshrrev_b32_e32 v122, 16, v131
	s_mul_i32 s11, s5, 0x222c
	s_waitcnt vmcnt(3)
	v_mul_f16_sdwa v1, v120, v85 dst_sel:DWORD dst_unused:UNUSED_PAD src0_sel:DWORD src1_sel:WORD_1
	v_fma_f16 v1, v0, v85, v1
	v_mul_f16_sdwa v0, v0, v85 dst_sel:DWORD dst_unused:UNUSED_PAD src0_sel:DWORD src1_sel:WORD_1
	v_fma_f16 v0, v120, v85, -v0
	v_mul_f16_sdwa v123, v131, v84 dst_sel:DWORD dst_unused:UNUSED_PAD src0_sel:DWORD src1_sel:WORD_1
	v_fma_f16 v123, v122, v84, v123
	v_mul_f16_sdwa v122, v122, v84 dst_sel:DWORD dst_unused:UNUSED_PAD src0_sel:DWORD src1_sel:WORD_1
	s_waitcnt vmcnt(2)
	v_mul_f16_sdwa v120, v3, v89 dst_sel:DWORD dst_unused:UNUSED_PAD src0_sel:DWORD src1_sel:WORD_1
	v_fma_f16 v126, v121, v89, -v120
	v_mul_f16_sdwa v120, v121, v89 dst_sel:DWORD dst_unused:UNUSED_PAD src0_sel:DWORD src1_sel:WORD_1
	v_fma_f16 v3, v3, v89, v120
	ds_read2_b32 v[120:121], v236 offset1:243
	v_fma_f16 v124, v131, v84, -v122
	v_add_f16_e32 v122, v124, v0
	v_sub_f16_e32 v125, v123, v1
	s_waitcnt lgkmcnt(0)
	v_fma_f16 v122, v122, -0.5, v120
	v_fma_f16 v127, v125, s2, v122
	v_fma_f16 v125, v125, s3, v122
	v_lshrrev_b32_e32 v122, 16, v120
	v_add_f16_e32 v131, v122, v123
	v_add_f16_e32 v131, v131, v1
	;; [unrolled: 1-line block ×3, first 2 shown]
	v_fma_f16 v1, v1, -0.5, v122
	ds_read2_b32 v[122:123], v177 offset0:6 offset1:249
	v_add_f16_e32 v120, v120, v124
	v_add_f16_e32 v120, v120, v0
	v_sub_f16_e32 v0, v124, v0
	v_fma_f16 v124, v0, s3, v1
	v_fma_f16 v0, v0, s2, v1
	s_waitcnt lgkmcnt(0)
	v_lshrrev_b32_e32 v1, 16, v122
	v_mul_f16_sdwa v244, v122, v88 dst_sel:DWORD dst_unused:UNUSED_PAD src0_sel:DWORD src1_sel:WORD_1
	v_fma_f16 v2, v1, v88, v244
	v_mul_f16_sdwa v1, v1, v88 dst_sel:DWORD dst_unused:UNUSED_PAD src0_sel:DWORD src1_sel:WORD_1
	v_fma_f16 v122, v122, v88, -v1
	v_add_f16_e32 v1, v122, v126
	v_fma_f16 v233, v1, -0.5, v121
	v_lshrrev_b32_e32 v4, 16, v121
	v_add_f16_e32 v1, v121, v122
	v_pack_b32_f16 v0, v125, v0
	ds_write_b32 v236, v0 offset:17496
	v_add_f16_e32 v0, v1, v126
	v_add_f16_e32 v1, v4, v2
	v_pack_b32_f16 v131, v120, v131
	v_pack_b32_f16 v120, v127, v124
	v_add_f16_e32 v1, v1, v3
	ds_write_b32 v236, v120 offset:8748
	v_pack_b32_f16 v127, v0, v1
	ds_read_b32 v232, v236 offset:25272
	ds_read2_b32 v[120:121], v175 offset0:6 offset1:249
	ds_read2_b32 v[124:125], v176 offset0:12 offset1:255
	;; [unrolled: 1-line block ×8, first 2 shown]
	ds_read2_b32 v[0:1], v149 offset1:243
	ds_write2_b32 v236, v131, v127 offset1:243
	v_lshrrev_b32_e32 v127, 16, v123
	s_waitcnt vmcnt(1)
	v_mul_f16_sdwa v131, v127, v96 dst_sel:DWORD dst_unused:UNUSED_PAD src0_sel:DWORD src1_sel:WORD_1
	v_fma_f16 v131, v123, v96, -v131
	v_mul_f16_sdwa v123, v123, v96 dst_sel:DWORD dst_unused:UNUSED_PAD src0_sel:DWORD src1_sel:WORD_1
	v_fma_f16 v123, v127, v96, v123
	v_sub_f16_e32 v127, v2, v3
	v_add_f16_e32 v2, v2, v3
	v_fma_f16 v2, v2, -0.5, v4
	v_sub_f16_e32 v3, v122, v126
	v_fma_f16 v4, v127, s2, v233
	v_fma_f16 v122, v3, s3, v2
	v_pack_b32_f16 v4, v4, v122
	s_waitcnt lgkmcnt(8)
	v_lshrrev_b32_e32 v122, 16, v124
	v_mul_f16_sdwa v126, v124, v97 dst_sel:DWORD dst_unused:UNUSED_PAD src0_sel:DWORD src1_sel:WORD_1
	v_fma_f16 v126, v122, v97, v126
	v_mul_f16_sdwa v122, v122, v97 dst_sel:DWORD dst_unused:UNUSED_PAD src0_sel:DWORD src1_sel:WORD_1
	v_fma_f16 v122, v124, v97, -v122
	v_add_f16_e32 v124, v131, v122
	v_lshrrev_b32_e32 v229, 16, v120
	v_add_f16_e32 v181, v123, v126
	v_fma_f16 v124, v124, -0.5, v120
	v_fma_f16 v181, v181, -0.5, v229
	v_sub_f16_e32 v228, v123, v126
	v_sub_f16_e32 v230, v131, v122
	v_fma_f16 v231, v228, s2, v124
	v_fma_f16 v237, v230, s3, v181
	v_pack_b32_f16 v231, v231, v237
	ds_write2_b32 v177, v4, v231 offset0:6 offset1:249
	v_fma_f16 v4, v127, s3, v233
	v_fma_f16 v2, v3, s2, v2
	;; [unrolled: 1-line block ×4, first 2 shown]
	v_pack_b32_f16 v2, v4, v2
	v_pack_b32_f16 v3, v3, v124
	v_accvgpr_read_b32 v233, a1
	ds_write2_b32 v233, v2, v3 offset0:9 offset1:252
	v_lshrrev_b32_e32 v2, 16, v125
	s_waitcnt vmcnt(0)
	v_mul_f16_sdwa v4, v125, v103 dst_sel:DWORD dst_unused:UNUSED_PAD src0_sel:DWORD src1_sel:WORD_1
	v_mul_f16_sdwa v3, v2, v103 dst_sel:DWORD dst_unused:UNUSED_PAD src0_sel:DWORD src1_sel:WORD_1
	v_fma_f16 v2, v2, v103, v4
	v_add_f16_e32 v4, v120, v131
	v_add_f16_e32 v4, v4, v122
	;; [unrolled: 1-line block ×3, first 2 shown]
	s_waitcnt lgkmcnt(9)
	v_lshrrev_b32_e32 v122, 16, v244
	v_mul_f16_sdwa v123, v244, v102 dst_sel:DWORD dst_unused:UNUSED_PAD src0_sel:DWORD src1_sel:WORD_1
	v_fma_f16 v131, v122, v102, v123
	v_mul_f16_sdwa v122, v122, v102 dst_sel:DWORD dst_unused:UNUSED_PAD src0_sel:DWORD src1_sel:WORD_1
	v_fma_f16 v3, v125, v103, -v3
	v_fma_f16 v181, v244, v102, -v122
	v_add_f16_e32 v122, v181, v3
	v_add_f16_e32 v120, v120, v126
	v_fma_f16 v228, v122, -0.5, v121
	v_lshrrev_b32_e32 v229, 16, v121
	v_add_f16_e32 v121, v121, v181
	v_pack_b32_f16 v4, v4, v120
	v_add_f16_e32 v120, v121, v3
	v_add_f16_e32 v121, v229, v131
	;; [unrolled: 1-line block ×3, first 2 shown]
	v_pack_b32_f16 v120, v120, v121
	ds_write2_b32 v175, v4, v120 offset0:6 offset1:249
	global_load_dwordx2 v[120:121], v[132:133], off offset:544
	global_load_dwordx2 v[122:123], v[134:135], off offset:544
	global_load_dwordx2 v[124:125], v[136:137], off offset:544
	global_load_dwordx2 v[126:127], v[138:139], off offset:544
	v_lshrrev_b32_e32 v4, 16, v245
	global_load_dwordx2 v[128:129], v[128:129], off offset:544
	v_sub_f16_e32 v3, v181, v3
	s_waitcnt lgkmcnt(9)
	v_lshrrev_b32_e32 v137, 16, v246
	v_accvgpr_read_b32 v237, a2
	v_accvgpr_read_b32 v244, a3
	s_waitcnt vmcnt(4)
	v_mul_f16_sdwa v133, v245, v120 dst_sel:DWORD dst_unused:UNUSED_PAD src0_sel:DWORD src1_sel:WORD_1
	v_mul_f16_sdwa v132, v4, v120 dst_sel:DWORD dst_unused:UNUSED_PAD src0_sel:DWORD src1_sel:WORD_1
	v_fma_f16 v4, v4, v120, v133
	v_sub_f16_e32 v133, v131, v2
	v_add_f16_e32 v2, v131, v2
	v_fma_f16 v2, v2, -0.5, v229
	v_fma_f16 v131, v133, s2, v228
	v_fma_f16 v134, v3, s3, v2
	v_pack_b32_f16 v131, v131, v134
	s_waitcnt lgkmcnt(8)
	v_lshrrev_b32_e32 v134, 16, v248
	v_mul_f16_sdwa v135, v248, v121 dst_sel:DWORD dst_unused:UNUSED_PAD src0_sel:DWORD src1_sel:WORD_1
	v_fma_f16 v135, v134, v121, v135
	v_mul_f16_sdwa v134, v134, v121 dst_sel:DWORD dst_unused:UNUSED_PAD src0_sel:DWORD src1_sel:WORD_1
	v_fma_f16 v132, v245, v120, -v132
	v_fma_f16 v134, v248, v121, -v134
	v_add_f16_e32 v136, v132, v134
	v_add_f16_e32 v138, v4, v135
	v_fma_f16 v136, v136, -0.5, v246
	v_fma_f16 v138, v138, -0.5, v137
	v_sub_f16_e32 v139, v4, v135
	v_sub_f16_e32 v229, v132, v134
	v_fma_f16 v181, v139, s2, v136
	v_fma_f16 v230, v229, s3, v138
	v_pack_b32_f16 v181, v181, v230
	ds_write2_b32 v170, v131, v181 offset0:4 offset1:247
	v_fma_f16 v131, v133, s3, v228
	v_fma_f16 v2, v3, s2, v2
	;; [unrolled: 1-line block ×4, first 2 shown]
	v_pack_b32_f16 v2, v131, v2
	v_pack_b32_f16 v3, v3, v133
	v_accvgpr_read_b32 v245, a4
	ds_write2_b32 v245, v2, v3 offset0:7 offset1:250
	v_lshrrev_b32_e32 v2, 16, v249
	s_waitcnt vmcnt(3)
	v_mul_f16_sdwa v131, v249, v123 dst_sel:DWORD dst_unused:UNUSED_PAD src0_sel:DWORD src1_sel:WORD_1
	v_mul_f16_sdwa v3, v2, v123 dst_sel:DWORD dst_unused:UNUSED_PAD src0_sel:DWORD src1_sel:WORD_1
	v_fma_f16 v2, v2, v123, v131
	v_add_f16_e32 v131, v246, v132
	s_waitcnt lgkmcnt(9)
	v_lshrrev_b32_e32 v132, 16, v250
	v_mul_f16_sdwa v133, v250, v122 dst_sel:DWORD dst_unused:UNUSED_PAD src0_sel:DWORD src1_sel:WORD_1
	v_fma_f16 v133, v132, v122, v133
	v_mul_f16_sdwa v132, v132, v122 dst_sel:DWORD dst_unused:UNUSED_PAD src0_sel:DWORD src1_sel:WORD_1
	v_add_f16_e32 v4, v137, v4
	v_fma_f16 v132, v250, v122, -v132
	v_fma_f16 v3, v249, v123, -v3
	v_add_f16_e32 v131, v131, v134
	v_add_f16_e32 v4, v4, v135
	v_lshrrev_b32_e32 v135, 16, v247
	v_add_f16_e32 v136, v247, v132
	v_pack_b32_f16 v4, v131, v4
	v_add_f16_e32 v131, v136, v3
	v_add_f16_e32 v136, v135, v133
	;; [unrolled: 1-line block ×3, first 2 shown]
	v_pack_b32_f16 v131, v131, v136
	ds_write2_b32 v167, v4, v131 offset0:12 offset1:255
	v_lshrrev_b32_e32 v4, 16, v251
	s_waitcnt vmcnt(2)
	v_mul_f16_sdwa v136, v251, v124 dst_sel:DWORD dst_unused:UNUSED_PAD src0_sel:DWORD src1_sel:WORD_1
	v_add_f16_e32 v134, v132, v3
	v_mul_f16_sdwa v131, v4, v124 dst_sel:DWORD dst_unused:UNUSED_PAD src0_sel:DWORD src1_sel:WORD_1
	v_fma_f16 v4, v4, v124, v136
	v_sub_f16_e32 v136, v133, v2
	v_add_f16_e32 v2, v133, v2
	v_fma_f16 v134, v134, -0.5, v247
	v_fma_f16 v2, v2, -0.5, v135
	v_sub_f16_e32 v3, v132, v3
	v_fma_f16 v132, v136, s2, v134
	v_fma_f16 v133, v3, s3, v2
	v_pack_b32_f16 v132, v132, v133
	s_waitcnt lgkmcnt(8)
	v_lshrrev_b32_e32 v133, 16, v254
	v_mul_f16_sdwa v135, v254, v125 dst_sel:DWORD dst_unused:UNUSED_PAD src0_sel:DWORD src1_sel:WORD_1
	v_fma_f16 v135, v133, v125, v135
	v_mul_f16_sdwa v133, v133, v125 dst_sel:DWORD dst_unused:UNUSED_PAD src0_sel:DWORD src1_sel:WORD_1
	v_fma_f16 v131, v251, v124, -v131
	v_fma_f16 v133, v254, v125, -v133
	v_add_f16_e32 v137, v131, v133
	v_lshrrev_b32_e32 v138, 16, v252
	v_add_f16_e32 v139, v4, v135
	v_fma_f16 v137, v137, -0.5, v252
	v_fma_f16 v139, v139, -0.5, v138
	v_sub_f16_e32 v181, v4, v135
	v_sub_f16_e32 v229, v131, v133
	v_fma_f16 v228, v181, s2, v137
	v_fma_f16 v230, v229, s3, v139
	v_pack_b32_f16 v228, v228, v230
	ds_write2_b32 v158, v132, v228 offset0:10 offset1:253
	v_fma_f16 v132, v136, s3, v134
	v_fma_f16 v2, v3, s2, v2
	;; [unrolled: 1-line block ×4, first 2 shown]
	v_pack_b32_f16 v2, v132, v2
	v_pack_b32_f16 v3, v3, v134
	ds_write2_b32 v237, v2, v3 offset0:5 offset1:248
	v_lshrrev_b32_e32 v2, 16, v255
	s_waitcnt vmcnt(1)
	v_mul_f16_sdwa v132, v255, v127 dst_sel:DWORD dst_unused:UNUSED_PAD src0_sel:DWORD src1_sel:WORD_1
	v_add_f16_e32 v131, v252, v131
	v_mul_f16_sdwa v3, v2, v127 dst_sel:DWORD dst_unused:UNUSED_PAD src0_sel:DWORD src1_sel:WORD_1
	v_fma_f16 v2, v2, v127, v132
	v_add_f16_e32 v131, v131, v133
	s_waitcnt lgkmcnt(9)
	v_lshrrev_b32_e32 v132, 16, v0
	v_mul_f16_sdwa v133, v0, v126 dst_sel:DWORD dst_unused:UNUSED_PAD src0_sel:DWORD src1_sel:WORD_1
	v_fma_f16 v133, v132, v126, v133
	v_mul_f16_sdwa v132, v132, v126 dst_sel:DWORD dst_unused:UNUSED_PAD src0_sel:DWORD src1_sel:WORD_1
	v_add_f16_e32 v4, v138, v4
	v_fma_f16 v0, v0, v126, -v132
	v_fma_f16 v3, v255, v127, -v3
	v_add_f16_e32 v4, v4, v135
	v_lshrrev_b32_e32 v134, 16, v253
	v_add_f16_e32 v135, v253, v0
	v_pack_b32_f16 v4, v131, v4
	v_add_f16_e32 v131, v135, v3
	v_add_f16_e32 v135, v134, v133
	;; [unrolled: 1-line block ×3, first 2 shown]
	v_pack_b32_f16 v131, v131, v135
	ds_write2_b32 v155, v4, v131 offset0:2 offset1:245
	v_lshrrev_b32_e32 v4, 16, v1
	s_waitcnt vmcnt(0)
	v_mul_f16_sdwa v131, v4, v128 dst_sel:DWORD dst_unused:UNUSED_PAD src0_sel:DWORD src1_sel:WORD_1
	v_fma_f16 v131, v1, v128, -v131
	v_mul_f16_sdwa v1, v1, v128 dst_sel:DWORD dst_unused:UNUSED_PAD src0_sel:DWORD src1_sel:WORD_1
	v_fma_f16 v1, v4, v128, v1
	v_lshrrev_b32_e32 v4, 16, v232
	v_mul_f16_sdwa v136, v232, v129 dst_sel:DWORD dst_unused:UNUSED_PAD src0_sel:DWORD src1_sel:WORD_1
	v_add_f16_e32 v132, v0, v3
	v_mul_f16_sdwa v135, v4, v129 dst_sel:DWORD dst_unused:UNUSED_PAD src0_sel:DWORD src1_sel:WORD_1
	v_fma_f16 v4, v4, v129, v136
	v_sub_f16_e32 v136, v133, v2
	v_add_f16_e32 v2, v133, v2
	v_fma_f16 v132, v132, -0.5, v253
	v_fma_f16 v2, v2, -0.5, v134
	v_sub_f16_e32 v0, v0, v3
	v_fma_f16 v135, v232, v129, -v135
	v_fma_f16 v134, v136, s2, v132
	v_fma_f16 v137, v0, s3, v2
	v_add_f16_e32 v3, v131, v135
	v_lshrrev_b32_e32 v133, 16, v130
	v_pack_b32_f16 v134, v134, v137
	v_add_f16_e32 v137, v1, v4
	v_fma_f16 v3, v3, -0.5, v130
	v_add_f16_e32 v130, v130, v131
	v_fma_f16 v137, v137, -0.5, v133
	v_sub_f16_e32 v131, v131, v135
	v_sub_f16_e32 v138, v1, v4
	v_fma_f16 v139, v138, s2, v3
	v_fma_f16 v132, v136, s3, v132
	v_fma_f16 v0, v0, s2, v2
	v_fma_f16 v2, v138, s3, v3
	v_fma_f16 v3, v131, s2, v137
	v_pack_b32_f16 v0, v132, v0
	v_pack_b32_f16 v2, v2, v3
	v_add_f16_e32 v1, v133, v1
	v_fma_f16 v181, v131, s3, v137
	ds_write2_b32 v244, v0, v2 offset0:11 offset1:254
	v_add_f16_e32 v0, v130, v135
	v_add_f16_e32 v1, v1, v4
	v_pack_b32_f16 v139, v139, v181
	v_pack_b32_f16 v0, v0, v1
	ds_write2_b32 v149, v134, v139 offset1:243
	ds_write_b32 v236, v0 offset:7776
	s_waitcnt lgkmcnt(0)
	s_barrier
	global_load_dword v2, v[68:69], off offset:1668
	v_add_co_u32_e32 v0, vcc, s6, v8
	v_lshl_add_u64 v[68:69], v[8:9], 0, s[8:9]
	s_nop 0
	v_addc_co_u32_e32 v1, vcc, 0, v9, vcc
	global_load_dword v3, v[0:1], off offset:2224
	global_load_dword v4, v[0:1], off offset:3196
	;; [unrolled: 1-line block ×4, first 2 shown]
	ds_read2_b32 v[130:131], v236 offset1:243
	global_load_dword v136, v[68:69], off offset:2916
	global_load_dword v137, v[68:69], off offset:3888
	;; [unrolled: 1-line block ×4, first 2 shown]
	v_add_co_u32_e32 v132, vcc, s7, v8
	s_mov_b32 s7, 0x9000
	s_waitcnt lgkmcnt(0)
	v_lshrrev_b32_e32 v0, 16, v130
	v_addc_co_u32_e32 v133, vcc, 0, v9, vcc
	s_movk_i32 s8, 0x1ff
	s_movk_i32 s9, 0xffe
	s_waitcnt vmcnt(8)
	v_mul_f16_sdwa v1, v130, v2 dst_sel:DWORD dst_unused:UNUSED_PAD src0_sel:DWORD src1_sel:WORD_1
	v_fma_f16 v1, v0, v2, v1
	v_mul_f16_sdwa v0, v0, v2 dst_sel:DWORD dst_unused:UNUSED_PAD src0_sel:DWORD src1_sel:WORD_1
	v_fma_f16 v0, v130, v2, -v0
	v_pack_b32_f16 v0, v0, v1
	ds_write_b32 v236, v0
	ds_read2_b32 v[68:69], v179 offset0:8 offset1:251
	s_waitcnt lgkmcnt(0)
	v_lshrrev_b32_e32 v0, 16, v69
	s_waitcnt vmcnt(7)
	v_mul_f16_sdwa v1, v69, v3 dst_sel:DWORD dst_unused:UNUSED_PAD src0_sel:DWORD src1_sel:WORD_1
	v_fma_f16 v1, v0, v3, v1
	v_mul_f16_sdwa v0, v0, v3 dst_sel:DWORD dst_unused:UNUSED_PAD src0_sel:DWORD src1_sel:WORD_1
	v_fma_f16 v0, v69, v3, -v0
	v_pack_b32_f16 v2, v0, v1
	ds_read2_b32 v[0:1], v177 offset0:6 offset1:249
	global_load_dword v69, v[132:133], off offset:836
	global_load_dword v181, v[132:133], off offset:1808
	;; [unrolled: 1-line block ×3, first 2 shown]
	s_waitcnt lgkmcnt(0)
	v_lshrrev_b32_e32 v3, 16, v0
	s_waitcnt vmcnt(9)
	v_mul_f16_sdwa v130, v0, v4 dst_sel:DWORD dst_unused:UNUSED_PAD src0_sel:DWORD src1_sel:WORD_1
	v_fma_f16 v130, v3, v4, v130
	v_mul_f16_sdwa v3, v3, v4 dst_sel:DWORD dst_unused:UNUSED_PAD src0_sel:DWORD src1_sel:WORD_1
	v_fma_f16 v0, v0, v4, -v3
	v_pack_b32_f16 v0, v0, v130
	v_add_u32_e32 v3, 0x2200, v236
	ds_write2_b32 v3, v2, v0 offset0:11 offset1:254
	v_lshrrev_b32_e32 v0, 16, v131
	s_waitcnt vmcnt(8)
	v_mul_f16_sdwa v2, v0, v134 dst_sel:DWORD dst_unused:UNUSED_PAD src0_sel:DWORD src1_sel:WORD_1
	v_fma_f16 v2, v131, v134, -v2
	v_mul_f16_sdwa v3, v131, v134 dst_sel:DWORD dst_unused:UNUSED_PAD src0_sel:DWORD src1_sel:WORD_1
	ds_read2_b32 v[130:131], v175 offset0:6 offset1:249
	v_fma_f16 v0, v0, v134, v3
	v_pack_b32_f16 v0, v2, v0
	v_add_co_u32_e32 v134, vcc, s7, v8
	s_waitcnt lgkmcnt(0)
	v_lshrrev_b32_e32 v2, 16, v130
	s_waitcnt vmcnt(7)
	v_mul_f16_sdwa v3, v130, v135 dst_sel:DWORD dst_unused:UNUSED_PAD src0_sel:DWORD src1_sel:WORD_1
	v_fma_f16 v3, v2, v135, v3
	v_mul_f16_sdwa v2, v2, v135 dst_sel:DWORD dst_unused:UNUSED_PAD src0_sel:DWORD src1_sel:WORD_1
	v_fma_f16 v2, v130, v135, -v2
	v_pack_b32_f16 v2, v2, v3
	v_add_u32_e32 v3, 0x3c0, v236
	ds_write2_b32 v3, v0, v2 offset0:3 offset1:246
	v_addc_co_u32_e32 v135, vcc, 0, v9, vcc
	global_load_dword v2, v[134:135], off offset:1044
	global_load_dword v3, v[134:135], off offset:2016
	;; [unrolled: 1-line block ×4, first 2 shown]
	v_lshrrev_b32_e32 v130, 16, v1
	s_mov_b32 s7, 0xb000
	s_waitcnt vmcnt(0)
	v_mul_f16_sdwa v132, v130, v0 dst_sel:DWORD dst_unused:UNUSED_PAD src0_sel:DWORD src1_sel:WORD_1
	v_fma_f16 v132, v1, v0, -v132
	v_mul_f16_sdwa v1, v1, v0 dst_sel:DWORD dst_unused:UNUSED_PAD src0_sel:DWORD src1_sel:WORD_1
	v_fma_f16 v0, v130, v0, v1
	v_pack_b32_f16 v130, v132, v0
	ds_read2_b32 v[0:1], v170 offset0:4 offset1:247
	s_waitcnt lgkmcnt(0)
	v_lshrrev_b32_e32 v132, 16, v0
	v_mul_f16_sdwa v133, v0, v2 dst_sel:DWORD dst_unused:UNUSED_PAD src0_sel:DWORD src1_sel:WORD_1
	v_fma_f16 v133, v132, v2, v133
	v_mul_f16_sdwa v132, v132, v2 dst_sel:DWORD dst_unused:UNUSED_PAD src0_sel:DWORD src1_sel:WORD_1
	v_fma_f16 v0, v0, v2, -v132
	v_pack_b32_f16 v0, v0, v133
	v_add_u32_e32 v2, 0x29c0, v236
	ds_write2_b32 v2, v130, v0 offset0:1 offset1:244
	v_lshrrev_b32_e32 v0, 16, v131
	v_mul_f16_sdwa v2, v0, v136 dst_sel:DWORD dst_unused:UNUSED_PAD src0_sel:DWORD src1_sel:WORD_1
	v_mul_f16_sdwa v130, v131, v136 dst_sel:DWORD dst_unused:UNUSED_PAD src0_sel:DWORD src1_sel:WORD_1
	v_fma_f16 v2, v131, v136, -v2
	v_fma_f16 v0, v0, v136, v130
	ds_read2_b32 v[130:131], v167 offset0:12 offset1:255
	v_pack_b32_f16 v0, v2, v0
	global_load_dword v136, v[134:135], off offset:3960
	s_waitcnt lgkmcnt(0)
	v_lshrrev_b32_e32 v2, 16, v130
	v_mul_f16_sdwa v132, v130, v137 dst_sel:DWORD dst_unused:UNUSED_PAD src0_sel:DWORD src1_sel:WORD_1
	v_fma_f16 v132, v2, v137, v132
	v_mul_f16_sdwa v2, v2, v137 dst_sel:DWORD dst_unused:UNUSED_PAD src0_sel:DWORD src1_sel:WORD_1
	v_fma_f16 v2, v130, v137, -v2
	v_pack_b32_f16 v2, v2, v132
	v_add_u32_e32 v130, 0xb40, v236
	ds_write2_b32 v130, v0, v2 offset0:9 offset1:252
	v_lshrrev_b32_e32 v0, 16, v1
	v_mul_f16_sdwa v2, v0, v3 dst_sel:DWORD dst_unused:UNUSED_PAD src0_sel:DWORD src1_sel:WORD_1
	v_fma_f16 v2, v1, v3, -v2
	v_mul_f16_sdwa v1, v1, v3 dst_sel:DWORD dst_unused:UNUSED_PAD src0_sel:DWORD src1_sel:WORD_1
	v_fma_f16 v0, v0, v3, v1
	global_load_dword v3, v[134:135], off offset:2988
	v_pack_b32_f16 v2, v2, v0
	v_add_co_u32_e32 v0, vcc, s7, v8
	s_movk_i32 s7, 0x7000
	s_nop 0
	v_addc_co_u32_e32 v1, vcc, 0, v9, vcc
	v_add_co_u32_e32 v132, vcc, s7, v8
	s_mov_b32 s7, 0xc000
	s_nop 0
	v_addc_co_u32_e32 v133, vcc, 0, v9, vcc
	global_load_dword v130, v[132:133], off offset:2432
	global_load_dword v137, v[0:1], off offset:2572
	;; [unrolled: 1-line block ×3, first 2 shown]
	ds_read2_b32 v[134:135], v158 offset0:10 offset1:253
	global_load_dword v132, v[132:133], off offset:3404
	s_waitcnt lgkmcnt(0)
	v_lshrrev_b32_e32 v230, 16, v134
	global_load_dword v231, v[0:1], off offset:628
	s_waitcnt vmcnt(5)
	v_mul_f16_sdwa v232, v134, v3 dst_sel:DWORD dst_unused:UNUSED_PAD src0_sel:DWORD src1_sel:WORD_1
	v_fma_f16 v232, v230, v3, v232
	v_mul_f16_sdwa v230, v230, v3 dst_sel:DWORD dst_unused:UNUSED_PAD src0_sel:DWORD src1_sel:WORD_1
	v_fma_f16 v3, v134, v3, -v230
	v_pack_b32_f16 v3, v3, v232
	v_add_u32_e32 v134, 0x3140, v236
	ds_write2_b32 v134, v2, v3 offset0:7 offset1:250
	v_lshrrev_b32_e32 v2, 16, v131
	v_accvgpr_read_b32 v230, a3
	s_waitcnt vmcnt(4)
	v_mul_f16_sdwa v3, v2, v130 dst_sel:DWORD dst_unused:UNUSED_PAD src0_sel:DWORD src1_sel:WORD_1
	v_fma_f16 v3, v131, v130, -v3
	v_mul_f16_sdwa v131, v131, v130 dst_sel:DWORD dst_unused:UNUSED_PAD src0_sel:DWORD src1_sel:WORD_1
	v_fma_f16 v2, v2, v130, v131
	ds_read2_b32 v[130:131], v155 offset0:2 offset1:245
	v_pack_b32_f16 v2, v3, v2
	s_waitcnt lgkmcnt(0)
	v_lshrrev_b32_e32 v3, 16, v130
	s_waitcnt vmcnt(1)
	v_mul_f16_sdwa v133, v130, v132 dst_sel:DWORD dst_unused:UNUSED_PAD src0_sel:DWORD src1_sel:WORD_1
	v_fma_f16 v133, v3, v132, v133
	v_mul_f16_sdwa v3, v3, v132 dst_sel:DWORD dst_unused:UNUSED_PAD src0_sel:DWORD src1_sel:WORD_1
	v_fma_f16 v3, v130, v132, -v3
	v_pack_b32_f16 v3, v3, v133
	ds_read2_b32 v[132:133], v149 offset1:243
	v_add_u32_e32 v130, 0x12e0, v236
	ds_write2_b32 v130, v2, v3 offset0:7 offset1:250
	v_lshrrev_b32_e32 v2, 16, v135
	v_mul_f16_sdwa v3, v2, v136 dst_sel:DWORD dst_unused:UNUSED_PAD src0_sel:DWORD src1_sel:WORD_1
	v_mul_f16_sdwa v130, v135, v136 dst_sel:DWORD dst_unused:UNUSED_PAD src0_sel:DWORD src1_sel:WORD_1
	v_fma_f16 v3, v135, v136, -v3
	v_fma_f16 v2, v2, v136, v130
	v_pack_b32_f16 v2, v3, v2
	s_waitcnt lgkmcnt(1)
	v_lshrrev_b32_e32 v3, 16, v132
	v_mul_f16_sdwa v130, v132, v69 dst_sel:DWORD dst_unused:UNUSED_PAD src0_sel:DWORD src1_sel:WORD_1
	v_fma_f16 v130, v3, v69, v130
	v_mul_f16_sdwa v3, v3, v69 dst_sel:DWORD dst_unused:UNUSED_PAD src0_sel:DWORD src1_sel:WORD_1
	v_fma_f16 v3, v132, v69, -v3
	v_pack_b32_f16 v3, v3, v130
	v_add_u32_e32 v69, 0x38e0, v236
	ds_write2_b32 v69, v2, v3 offset0:5 offset1:248
	global_load_dword v2, v[0:1], off offset:1600
	v_add_co_u32_e32 v0, vcc, s7, v8
	v_mul_f16_sdwa v8, v131, v138 dst_sel:DWORD dst_unused:UNUSED_PAD src0_sel:DWORD src1_sel:WORD_1
	s_nop 0
	v_addc_co_u32_e32 v1, vcc, 0, v9, vcc
	global_load_dword v3, v[0:1], off offset:420
	global_load_dword v69, v[0:1], off offset:1392
	;; [unrolled: 1-line block ×3, first 2 shown]
	v_lshrrev_b32_e32 v0, 16, v131
	v_mul_f16_sdwa v1, v0, v138 dst_sel:DWORD dst_unused:UNUSED_PAD src0_sel:DWORD src1_sel:WORD_1
	v_fma_f16 v0, v0, v138, v8
	v_lshrrev_b32_e32 v8, 16, v68
	v_mul_f16_sdwa v9, v8, v139 dst_sel:DWORD dst_unused:UNUSED_PAD src0_sel:DWORD src1_sel:WORD_1
	v_fma_f16 v9, v68, v139, -v9
	v_mul_f16_sdwa v68, v68, v139 dst_sel:DWORD dst_unused:UNUSED_PAD src0_sel:DWORD src1_sel:WORD_1
	v_fma_f16 v1, v131, v138, -v1
	v_fma_f16 v8, v8, v139, v68
	v_pack_b32_f16 v0, v1, v0
	v_pack_b32_f16 v1, v9, v8
	v_add_u32_e32 v8, 0x1a80, v236
	ds_write2_b32 v8, v0, v1 offset0:5 offset1:248
	ds_read2_b32 v[0:1], v178 offset0:6 offset1:249
	v_lshrrev_b32_e32 v8, 16, v133
	v_mul_f16_sdwa v68, v133, v181 dst_sel:DWORD dst_unused:UNUSED_PAD src0_sel:DWORD src1_sel:WORD_1
	v_mul_f16_sdwa v9, v8, v181 dst_sel:DWORD dst_unused:UNUSED_PAD src0_sel:DWORD src1_sel:WORD_1
	v_fma_f16 v8, v8, v181, v68
	s_waitcnt lgkmcnt(0)
	v_lshrrev_b32_e32 v68, 16, v0
	v_mul_f16_sdwa v131, v0, v228 dst_sel:DWORD dst_unused:UNUSED_PAD src0_sel:DWORD src1_sel:WORD_1
	v_fma_f16 v131, v68, v228, v131
	v_mul_f16_sdwa v68, v68, v228 dst_sel:DWORD dst_unused:UNUSED_PAD src0_sel:DWORD src1_sel:WORD_1
	v_fma_f16 v9, v133, v181, -v9
	v_fma_f16 v0, v0, v228, -v68
	v_pack_b32_f16 v0, v0, v131
	v_pack_b32_f16 v8, v9, v8
	v_add_u32_e32 v9, 0x4080, v236
	ds_write2_b32 v9, v8, v0 offset0:3 offset1:246
	ds_read2_b32 v[8:9], v176 offset0:12 offset1:255
	v_lshrrev_b32_e32 v0, 16, v1
	v_mul_f16_sdwa v68, v0, v4 dst_sel:DWORD dst_unused:UNUSED_PAD src0_sel:DWORD src1_sel:WORD_1
	v_fma_f16 v68, v1, v4, -v68
	v_mul_f16_sdwa v1, v1, v4 dst_sel:DWORD dst_unused:UNUSED_PAD src0_sel:DWORD src1_sel:WORD_1
	v_fma_f16 v0, v0, v4, v1
	s_waitcnt lgkmcnt(0)
	v_lshrrev_b32_e32 v1, 16, v8
	s_waitcnt vmcnt(4)
	v_mul_f16_sdwa v4, v8, v231 dst_sel:DWORD dst_unused:UNUSED_PAD src0_sel:DWORD src1_sel:WORD_1
	v_fma_f16 v4, v1, v231, v4
	v_mul_f16_sdwa v1, v1, v231 dst_sel:DWORD dst_unused:UNUSED_PAD src0_sel:DWORD src1_sel:WORD_1
	v_fma_f16 v1, v8, v231, -v1
	v_pack_b32_f16 v0, v68, v0
	v_pack_b32_f16 v1, v1, v4
	ds_write2_b32 v233, v0, v1 offset0:9 offset1:252
	ds_read2_b32 v[0:1], v164 offset0:2 offset1:245
	v_lshrrev_b32_e32 v4, 16, v9
	s_mov_b32 s7, 0xffff
	v_accvgpr_read_b32 v228, a1
	v_accvgpr_read_b32 v231, a4
	s_waitcnt vmcnt(3)
	v_mul_f16_sdwa v8, v4, v2 dst_sel:DWORD dst_unused:UNUSED_PAD src0_sel:DWORD src1_sel:WORD_1
	v_fma_f16 v8, v9, v2, -v8
	v_mul_f16_sdwa v9, v9, v2 dst_sel:DWORD dst_unused:UNUSED_PAD src0_sel:DWORD src1_sel:WORD_1
	v_fma_f16 v2, v4, v2, v9
	v_pack_b32_f16 v2, v8, v2
	s_waitcnt lgkmcnt(0)
	v_lshrrev_b32_e32 v4, 16, v0
	v_mul_f16_sdwa v8, v0, v137 dst_sel:DWORD dst_unused:UNUSED_PAD src0_sel:DWORD src1_sel:WORD_1
	v_fma_f16 v8, v4, v137, v8
	v_mul_f16_sdwa v4, v4, v137 dst_sel:DWORD dst_unused:UNUSED_PAD src0_sel:DWORD src1_sel:WORD_1
	v_fma_f16 v0, v0, v137, -v4
	v_pack_b32_f16 v0, v0, v8
	ds_read2_b32 v[8:9], v152 offset0:8 offset1:251
	ds_write2_b32 v245, v2, v0 offset0:7 offset1:250
	v_lshrrev_b32_e32 v0, 16, v1
	v_mul_f16_sdwa v2, v0, v229 dst_sel:DWORD dst_unused:UNUSED_PAD src0_sel:DWORD src1_sel:WORD_1
	v_fma_f16 v2, v1, v229, -v2
	v_mul_f16_sdwa v1, v1, v229 dst_sel:DWORD dst_unused:UNUSED_PAD src0_sel:DWORD src1_sel:WORD_1
	v_fma_f16 v0, v0, v229, v1
	v_pack_b32_f16 v0, v2, v0
	s_waitcnt lgkmcnt(1)
	v_lshrrev_b32_e32 v1, 16, v8
	s_waitcnt vmcnt(2)
	v_mul_f16_sdwa v2, v8, v3 dst_sel:DWORD dst_unused:UNUSED_PAD src0_sel:DWORD src1_sel:WORD_1
	v_fma_f16 v2, v1, v3, v2
	v_mul_f16_sdwa v1, v1, v3 dst_sel:DWORD dst_unused:UNUSED_PAD src0_sel:DWORD src1_sel:WORD_1
	v_fma_f16 v1, v8, v3, -v1
	v_pack_b32_f16 v1, v1, v2
	ds_write2_b32 v237, v0, v1 offset0:5 offset1:248
	ds_read_b32 v1, v236 offset:25272
	v_lshrrev_b32_e32 v0, 16, v9
	s_waitcnt vmcnt(1)
	v_mul_f16_sdwa v3, v9, v69 dst_sel:DWORD dst_unused:UNUSED_PAD src0_sel:DWORD src1_sel:WORD_1
	v_mul_f16_sdwa v2, v0, v69 dst_sel:DWORD dst_unused:UNUSED_PAD src0_sel:DWORD src1_sel:WORD_1
	v_fma_f16 v0, v0, v69, v3
	s_waitcnt lgkmcnt(0)
	v_lshrrev_b32_e32 v3, 16, v1
	s_waitcnt vmcnt(0)
	v_mul_f16_sdwa v4, v3, v130 dst_sel:DWORD dst_unused:UNUSED_PAD src0_sel:DWORD src1_sel:WORD_1
	v_fma_f16 v4, v1, v130, -v4
	v_mul_f16_sdwa v1, v1, v130 dst_sel:DWORD dst_unused:UNUSED_PAD src0_sel:DWORD src1_sel:WORD_1
	v_fma_f16 v2, v9, v69, -v2
	v_fma_f16 v1, v3, v130, v1
	v_pack_b32_f16 v0, v2, v0
	v_pack_b32_f16 v1, v4, v1
	ds_write2_b32 v244, v0, v1 offset0:11 offset1:254
	s_waitcnt lgkmcnt(0)
	s_barrier
	ds_read2_b32 v[0:1], v178 offset0:6 offset1:249
	ds_read2_b32 v[8:9], v179 offset0:8 offset1:251
	ds_read2_b32 v[68:69], v236 offset1:243
	v_accvgpr_read_b32 v229, a2
	s_waitcnt lgkmcnt(1)
	v_pk_add_f16 v2, v9, v0
	v_pk_add_f16 v3, v9, v0 neg_lo:[0,1] neg_hi:[0,1]
	s_waitcnt lgkmcnt(0)
	v_pk_fma_f16 v2, v2, 0.5, v68 op_sel_hi:[1,0,1] neg_lo:[1,0,0] neg_hi:[1,0,0]
	v_pk_mul_f16 v3, v3, s2 op_sel_hi:[1,0]
	s_nop 0
	v_pk_add_f16 v4, v2, v3 op_sel:[0,1] op_sel_hi:[1,0] neg_lo:[0,1] neg_hi:[0,1]
	v_pk_add_f16 v2, v2, v3 op_sel:[0,1] op_sel_hi:[1,0]
	v_pk_add_f16 v3, v68, v9
	v_bfi_b32 v9, s7, v4, v2
	v_pk_add_f16 v0, v3, v0
	ds_read_b32 v3, v236 offset:25272
	ds_read2_b32 v[130:131], v177 offset0:6 offset1:249
	ds_read2_b32 v[132:133], v175 offset0:6 offset1:249
	;; [unrolled: 1-line block ×9, first 2 shown]
	ds_read2_b32 v[252:253], v149 offset1:243
	s_waitcnt lgkmcnt(0)
	s_barrier
	ds_write2_b32 v183, v0, v9 offset1:1
	v_bfi_b32 v0, s7, v2, v4
	v_pk_add_f16 v2, v69, v130
	ds_write_b32 v183, v0 offset:8
	v_pk_add_f16 v0, v130, v1
	v_pk_add_f16 v2, v2, v1
	v_pk_add_f16 v1, v130, v1 neg_lo:[0,1] neg_hi:[0,1]
	v_pk_fma_f16 v0, v0, 0.5, v69 op_sel_hi:[1,0,1] neg_lo:[1,0,0] neg_hi:[1,0,0]
	v_pk_mul_f16 v1, v1, s2 op_sel_hi:[1,0]
	s_nop 0
	v_pk_add_f16 v4, v0, v1 op_sel:[0,1] op_sel_hi:[1,0] neg_lo:[0,1] neg_hi:[0,1]
	v_pk_add_f16 v0, v0, v1 op_sel:[0,1] op_sel_hi:[1,0]
	s_nop 0
	v_bfi_b32 v1, s7, v4, v0
	ds_write2_b32 v184, v2, v1 offset1:1
	v_pk_add_f16 v1, v131, v134
	v_pk_add_f16 v2, v131, v134 neg_lo:[0,1] neg_hi:[0,1]
	v_bfi_b32 v0, s7, v0, v4
	v_pk_fma_f16 v1, v1, 0.5, v132 op_sel_hi:[1,0,1] neg_lo:[1,0,0] neg_hi:[1,0,0]
	v_pk_mul_f16 v2, v2, s2 op_sel_hi:[1,0]
	ds_write_b32 v184, v0 offset:8
	v_pk_add_f16 v0, v132, v131
	v_pk_add_f16 v4, v1, v2 op_sel:[0,1] op_sel_hi:[1,0] neg_lo:[0,1] neg_hi:[0,1]
	v_pk_add_f16 v1, v1, v2 op_sel:[0,1] op_sel_hi:[1,0]
	v_pk_add_f16 v0, v0, v134
	v_bfi_b32 v2, s7, v4, v1
	ds_write2_b32 v185, v0, v2 offset1:1
	v_bfi_b32 v0, s7, v1, v4
	ds_write_b32 v185, v0 offset:8
	v_pk_add_f16 v0, v136, v135
	v_pk_add_f16 v2, v136, v135 neg_lo:[0,1] neg_hi:[0,1]
	v_pk_fma_f16 v0, v0, 0.5, v133 op_sel_hi:[1,0,1] neg_lo:[1,0,0] neg_hi:[1,0,0]
	v_pk_mul_f16 v2, v2, s2 op_sel_hi:[1,0]
	v_pk_add_f16 v1, v133, v136
	v_pk_add_f16 v4, v0, v2 op_sel:[0,1] op_sel_hi:[1,0] neg_lo:[0,1] neg_hi:[0,1]
	v_pk_add_f16 v0, v0, v2 op_sel:[0,1] op_sel_hi:[1,0]
	v_pk_add_f16 v1, v1, v135
	v_bfi_b32 v2, s7, v4, v0
	ds_write2_b32 v186, v1, v2 offset1:1
	v_pk_add_f16 v1, v137, v244
	v_pk_add_f16 v2, v137, v244 neg_lo:[0,1] neg_hi:[0,1]
	v_bfi_b32 v0, s7, v0, v4
	v_pk_fma_f16 v1, v1, 0.5, v138 op_sel_hi:[1,0,1] neg_lo:[1,0,0] neg_hi:[1,0,0]
	v_pk_mul_f16 v2, v2, s2 op_sel_hi:[1,0]
	ds_write_b32 v186, v0 offset:8
	v_pk_add_f16 v0, v138, v137
	v_pk_add_f16 v4, v1, v2 op_sel:[0,1] op_sel_hi:[1,0] neg_lo:[0,1] neg_hi:[0,1]
	v_pk_add_f16 v1, v1, v2 op_sel:[0,1] op_sel_hi:[1,0]
	v_pk_add_f16 v0, v0, v244
	v_bfi_b32 v2, s7, v4, v1
	ds_write2_b32 v187, v0, v2 offset1:1
	v_bfi_b32 v0, s7, v1, v4
	ds_write_b32 v187, v0 offset:8
	v_pk_add_f16 v0, v246, v245
	v_pk_add_f16 v2, v246, v245 neg_lo:[0,1] neg_hi:[0,1]
	v_pk_fma_f16 v0, v0, 0.5, v139 op_sel_hi:[1,0,1] neg_lo:[1,0,0] neg_hi:[1,0,0]
	v_pk_mul_f16 v2, v2, s2 op_sel_hi:[1,0]
	v_pk_add_f16 v1, v139, v246
	v_pk_add_f16 v4, v0, v2 op_sel:[0,1] op_sel_hi:[1,0] neg_lo:[0,1] neg_hi:[0,1]
	v_pk_add_f16 v0, v0, v2 op_sel:[0,1] op_sel_hi:[1,0]
	v_pk_add_f16 v1, v1, v245
	;; [unrolled: 24-line block ×3, first 2 shown]
	v_bfi_b32 v2, s7, v4, v0
	v_bfi_b32 v0, s7, v0, v4
	ds_write2_b32 v190, v1, v2 offset1:1
	ds_write_b32 v190, v0 offset:8
	v_pk_add_f16 v0, v253, v3
	v_pk_add_f16 v2, v253, v3 neg_lo:[0,1] neg_hi:[0,1]
	v_pk_fma_f16 v0, v0, 0.5, v8 op_sel_hi:[1,0,1] neg_lo:[1,0,0] neg_hi:[1,0,0]
	v_pk_add_f16 v1, v8, v253
	v_pk_mul_f16 v2, v2, s2 op_sel_hi:[1,0]
	v_pk_add_f16 v1, v1, v3
	v_pk_add_f16 v3, v0, v2 op_sel:[0,1] op_sel_hi:[1,0] neg_lo:[0,1] neg_hi:[0,1]
	v_pk_add_f16 v0, v0, v2 op_sel:[0,1] op_sel_hi:[1,0]
	s_nop 0
	v_bfi_b32 v2, s7, v3, v0
	v_bfi_b32 v0, s7, v0, v3
	ds_write2_b32 v191, v1, v2 offset1:1
	ds_write_b32 v191, v0 offset:8
	s_waitcnt lgkmcnt(0)
	s_barrier
	ds_read_b32 v2, v236 offset:25272
	ds_read2_b32 v[0:1], v149 offset1:243
	s_waitcnt lgkmcnt(1)
	v_lshrrev_b32_e32 v3, 16, v2
	v_mul_f16_sdwa v4, v49, v3 dst_sel:DWORD dst_unused:UNUSED_PAD src0_sel:WORD_1 src1_sel:DWORD
	v_fma_f16 v4, v49, v2, v4
	v_mul_f16_sdwa v2, v49, v2 dst_sel:DWORD dst_unused:UNUSED_PAD src0_sel:WORD_1 src1_sel:DWORD
	v_fma_f16 v2, v49, v3, -v2
	s_waitcnt lgkmcnt(0)
	v_lshrrev_b32_e32 v3, 16, v1
	v_mul_f16_sdwa v8, v48, v1 dst_sel:DWORD dst_unused:UNUSED_PAD src0_sel:WORD_1 src1_sel:DWORD
	v_fma_f16 v49, v48, v3, -v8
	ds_read2_b32 v[8:9], v152 offset0:8 offset1:251
	v_mul_f16_sdwa v3, v48, v3 dst_sel:DWORD dst_unused:UNUSED_PAD src0_sel:WORD_1 src1_sel:DWORD
	v_fma_f16 v3, v48, v1, v3
	v_lshrrev_b32_e32 v1, 16, v0
	v_mul_f16_sdwa v48, v44, v1 dst_sel:DWORD dst_unused:UNUSED_PAD src0_sel:WORD_1 src1_sel:DWORD
	v_fma_f16 v48, v44, v0, v48
	v_mul_f16_sdwa v0, v44, v0 dst_sel:DWORD dst_unused:UNUSED_PAD src0_sel:WORD_1 src1_sel:DWORD
	v_fma_f16 v44, v44, v1, -v0
	s_waitcnt lgkmcnt(0)
	v_lshrrev_b32_e32 v0, 16, v9
	v_mul_f16_sdwa v1, v45, v9 dst_sel:DWORD dst_unused:UNUSED_PAD src0_sel:WORD_1 src1_sel:DWORD
	v_fma_f16 v68, v45, v0, -v1
	v_mul_f16_sdwa v0, v45, v0 dst_sel:DWORD dst_unused:UNUSED_PAD src0_sel:WORD_1 src1_sel:DWORD
	v_fma_f16 v45, v45, v9, v0
	ds_read2_b32 v[0:1], v158 offset0:10 offset1:253
	v_lshrrev_b32_e32 v9, 16, v8
	v_mul_f16_sdwa v69, v39, v9 dst_sel:DWORD dst_unused:UNUSED_PAD src0_sel:WORD_1 src1_sel:DWORD
	v_fma_f16 v69, v39, v8, v69
	v_mul_f16_sdwa v8, v39, v8 dst_sel:DWORD dst_unused:UNUSED_PAD src0_sel:WORD_1 src1_sel:DWORD
	v_fma_f16 v39, v39, v9, -v8
	s_waitcnt lgkmcnt(0)
	v_lshrrev_b32_e32 v8, 16, v1
	v_mul_f16_sdwa v9, v38, v1 dst_sel:DWORD dst_unused:UNUSED_PAD src0_sel:WORD_1 src1_sel:DWORD
	v_fma_f16 v130, v38, v8, -v9
	v_mul_f16_sdwa v8, v38, v8 dst_sel:DWORD dst_unused:UNUSED_PAD src0_sel:WORD_1 src1_sel:DWORD
	v_fma_f16 v38, v38, v1, v8
	ds_read2_b32 v[8:9], v164 offset0:2 offset1:245
	;; [unrolled: 12-line block ×6, first 2 shown]
	v_lshrrev_b32_e32 v1, 16, v0
	v_mul_f16_sdwa v8, v12, v1 dst_sel:DWORD dst_unused:UNUSED_PAD src0_sel:WORD_1 src1_sel:DWORD
	v_fma_f16 v183, v12, v0, v8
	v_mul_f16_sdwa v0, v12, v0 dst_sel:DWORD dst_unused:UNUSED_PAD src0_sel:WORD_1 src1_sel:DWORD
	v_fma_f16 v184, v12, v1, -v0
	s_waitcnt lgkmcnt(0)
	v_lshrrev_b32_e32 v0, 16, v15
	v_mul_f16_sdwa v1, v13, v15 dst_sel:DWORD dst_unused:UNUSED_PAD src0_sel:WORD_1 src1_sel:DWORD
	v_fma_f16 v185, v13, v0, -v1
	v_mul_f16_sdwa v0, v13, v0 dst_sel:DWORD dst_unused:UNUSED_PAD src0_sel:WORD_1 src1_sel:DWORD
	v_fma_f16 v186, v13, v15, v0
	v_lshrrev_b32_e32 v0, 16, v14
	ds_read2_b32 v[8:9], v179 offset0:8 offset1:251
	v_mul_f16_sdwa v1, v11, v0 dst_sel:DWORD dst_unused:UNUSED_PAD src0_sel:WORD_1 src1_sel:DWORD
	v_fma_f16 v12, v11, v14, v1
	v_mul_f16_sdwa v1, v11, v14 dst_sel:DWORD dst_unused:UNUSED_PAD src0_sel:WORD_1 src1_sel:DWORD
	v_fma_f16 v11, v11, v0, -v1
	ds_read2_b32 v[0:1], v236 offset1:243
	s_waitcnt lgkmcnt(1)
	v_lshrrev_b32_e32 v13, 16, v9
	v_mul_f16_sdwa v14, v10, v9 dst_sel:DWORD dst_unused:UNUSED_PAD src0_sel:WORD_1 src1_sel:DWORD
	v_fma_f16 v14, v10, v13, -v14
	v_mul_f16_sdwa v13, v10, v13 dst_sel:DWORD dst_unused:UNUSED_PAD src0_sel:WORD_1 src1_sel:DWORD
	v_fma_f16 v9, v10, v9, v13
	s_waitcnt lgkmcnt(0)
	v_lshrrev_b32_e32 v10, 16, v0
	v_add_f16_e32 v13, v10, v14
	v_add_f16_e32 v13, v13, v11
	v_sub_f16_e32 v187, v14, v11
	v_add_f16_e32 v11, v14, v11
	v_fma_f16 v188, v11, -0.5, v10
	v_add_f16_e32 v10, v0, v9
	v_add_f16_e32 v11, v9, v12
	;; [unrolled: 1-line block ×3, first 2 shown]
	v_sub_f16_e32 v9, v9, v12
	v_fma_f16 v0, v11, -0.5, v0
	v_pack_b32_f16 v189, v10, v13
	v_fma_f16 v10, v187, s3, v0
	v_fma_f16 v11, v9, s2, v188
	;; [unrolled: 1-line block ×4, first 2 shown]
	v_pack_b32_f16 v190, v10, v11
	v_pack_b32_f16 v0, v0, v9
	ds_read2_b32 v[10:11], v175 offset0:6 offset1:249
	ds_read2_b32 v[12:13], v167 offset0:12 offset1:255
	;; [unrolled: 1-line block ×3, first 2 shown]
	s_waitcnt lgkmcnt(0)
	s_barrier
	ds_write2_b32 v5, v189, v190 offset1:3
	ds_write_b32 v5, v0 offset:24
	v_add_f16_e32 v0, v183, v186
	v_lshrrev_b32_e32 v5, 16, v1
	v_fma_f16 v0, v0, -0.5, v1
	v_add_f16_e32 v1, v1, v183
	v_add_f16_e32 v9, v5, v184
	v_sub_f16_e32 v187, v184, v185
	v_add_f16_e32 v184, v184, v185
	v_add_f16_e32 v9, v9, v185
	v_fma_f16 v5, v184, -0.5, v5
	v_add_f16_e32 v1, v1, v186
	v_sub_f16_e32 v183, v183, v186
	v_pack_b32_f16 v1, v1, v9
	v_fma_f16 v9, v187, s3, v0
	v_fma_f16 v184, v183, s2, v5
	v_pack_b32_f16 v9, v9, v184
	ds_write2_b32 v192, v1, v9 offset1:3
	v_fma_f16 v0, v187, s2, v0
	v_fma_f16 v1, v183, s3, v5
	v_pack_b32_f16 v0, v0, v1
	ds_write_b32 v192, v0 offset:24
	v_lshrrev_b32_e32 v0, 16, v10
	v_add_f16_e32 v9, v139, v138
	v_add_f16_e32 v1, v0, v139
	v_fma_f16 v0, v9, -0.5, v0
	v_add_f16_e32 v9, v10, v181
	v_add_f16_e32 v1, v1, v138
	v_sub_f16_e32 v5, v139, v138
	v_add_f16_e32 v9, v9, v137
	v_add_f16_e32 v138, v181, v137
	v_sub_f16_e32 v137, v181, v137
	v_pack_b32_f16 v1, v9, v1
	v_fma_f16 v9, v138, -0.5, v10
	v_fma_f16 v10, v5, s3, v9
	v_fma_f16 v138, v137, s2, v0
	v_pack_b32_f16 v10, v10, v138
	ds_write2_b32 v193, v1, v10 offset1:3
	v_fma_f16 v1, v5, s2, v9
	v_fma_f16 v0, v137, s3, v0
	v_pack_b32_f16 v0, v1, v0
	ds_write_b32 v193, v0 offset:24
	v_add_f16_e32 v0, v135, v19
	v_lshrrev_b32_e32 v1, 16, v11
	v_fma_f16 v0, v0, -0.5, v11
	v_add_f16_e32 v5, v11, v135
	v_add_f16_e32 v9, v1, v18
	;; [unrolled: 1-line block ×4, first 2 shown]
	v_sub_f16_e32 v10, v18, v136
	v_fma_f16 v1, v11, -0.5, v1
	v_add_f16_e32 v5, v5, v19
	v_sub_f16_e32 v11, v135, v19
	v_pack_b32_f16 v5, v5, v9
	v_fma_f16 v9, v10, s3, v0
	v_fma_f16 v18, v11, s2, v1
	;; [unrolled: 1-line block ×4, first 2 shown]
	v_pack_b32_f16 v9, v9, v18
	v_pack_b32_f16 v0, v0, v1
	ds_write2_b32 v194, v5, v9 offset1:3
	ds_write_b32 v194, v0 offset:24
	v_lshrrev_b32_e32 v0, 16, v12
	v_add_f16_e32 v9, v134, v31
	v_add_f16_e32 v1, v0, v134
	v_fma_f16 v0, v9, -0.5, v0
	v_add_f16_e32 v9, v12, v30
	v_add_f16_e32 v1, v1, v31
	;; [unrolled: 1-line block ×4, first 2 shown]
	v_sub_f16_e32 v5, v134, v31
	v_sub_f16_e32 v11, v30, v133
	v_pack_b32_f16 v1, v9, v1
	v_fma_f16 v9, v10, -0.5, v12
	v_fma_f16 v10, v5, s3, v9
	v_fma_f16 v12, v11, s2, v0
	v_pack_b32_f16 v10, v10, v12
	ds_write2_b32 v195, v1, v10 offset1:3
	v_fma_f16 v1, v5, s2, v9
	v_fma_f16 v0, v11, s3, v0
	v_pack_b32_f16 v0, v1, v0
	v_lshrrev_b32_e32 v1, 16, v13
	ds_write_b32 v195, v0 offset:24
	v_add_f16_e32 v0, v131, v37
	v_add_f16_e32 v5, v13, v131
	;; [unrolled: 1-line block ×4, first 2 shown]
	v_fma_f16 v0, v0, -0.5, v13
	v_add_f16_e32 v9, v9, v132
	v_sub_f16_e32 v10, v36, v132
	v_fma_f16 v1, v11, -0.5, v1
	v_add_f16_e32 v5, v5, v37
	v_sub_f16_e32 v11, v131, v37
	v_pack_b32_f16 v5, v5, v9
	v_fma_f16 v9, v10, s3, v0
	v_fma_f16 v12, v11, s2, v1
	;; [unrolled: 1-line block ×4, first 2 shown]
	v_pack_b32_f16 v9, v9, v12
	v_pack_b32_f16 v0, v0, v1
	ds_write2_b32 v197, v5, v9 offset1:3
	ds_write_b32 v197, v0 offset:24
	v_lshrrev_b32_e32 v0, 16, v14
	v_add_f16_e32 v9, v130, v39
	v_add_f16_e32 v1, v0, v130
	v_fma_f16 v0, v9, -0.5, v0
	v_add_f16_e32 v9, v14, v38
	v_add_f16_e32 v1, v1, v39
	;; [unrolled: 1-line block ×4, first 2 shown]
	v_sub_f16_e32 v5, v130, v39
	v_sub_f16_e32 v11, v38, v69
	v_pack_b32_f16 v1, v9, v1
	v_fma_f16 v9, v10, -0.5, v14
	v_fma_f16 v10, v5, s3, v9
	v_fma_f16 v12, v11, s2, v0
	v_pack_b32_f16 v10, v10, v12
	ds_write2_b32 v198, v1, v10 offset1:3
	v_fma_f16 v1, v5, s2, v9
	v_fma_f16 v0, v11, s3, v0
	v_pack_b32_f16 v0, v1, v0
	v_lshrrev_b32_e32 v1, 16, v15
	ds_write_b32 v198, v0 offset:24
	v_add_f16_e32 v0, v48, v45
	v_add_f16_e32 v5, v15, v48
	;; [unrolled: 1-line block ×4, first 2 shown]
	v_fma_f16 v0, v0, -0.5, v15
	v_add_f16_e32 v9, v9, v68
	v_sub_f16_e32 v10, v44, v68
	v_fma_f16 v1, v11, -0.5, v1
	v_add_f16_e32 v5, v5, v45
	v_sub_f16_e32 v11, v48, v45
	v_pack_b32_f16 v5, v5, v9
	v_fma_f16 v9, v10, s3, v0
	v_fma_f16 v12, v11, s2, v1
	;; [unrolled: 1-line block ×4, first 2 shown]
	v_pack_b32_f16 v0, v0, v1
	v_pack_b32_f16 v9, v9, v12
	ds_write_b32 v199, v0 offset:24
	v_add_f16_e32 v0, v3, v4
	v_lshrrev_b32_e32 v1, 16, v8
	ds_write2_b32 v199, v5, v9 offset1:3
	v_fma_f16 v0, v0, -0.5, v8
	v_add_f16_e32 v5, v8, v3
	v_add_f16_e32 v8, v1, v49
	;; [unrolled: 1-line block ×3, first 2 shown]
	v_sub_f16_e32 v9, v49, v2
	v_add_f16_e32 v2, v49, v2
	v_fma_f16 v1, v2, -0.5, v1
	v_sub_f16_e32 v3, v3, v4
	v_add_f16_e32 v2, v5, v4
	v_fma_f16 v4, v9, s3, v0
	v_fma_f16 v5, v3, s2, v1
	;; [unrolled: 1-line block ×4, first 2 shown]
	v_pack_b32_f16 v2, v2, v8
	v_pack_b32_f16 v4, v4, v5
	;; [unrolled: 1-line block ×3, first 2 shown]
	ds_write2_b32 v200, v2, v4 offset1:3
	ds_write_b32 v200, v0 offset:24
	s_waitcnt lgkmcnt(0)
	s_barrier
	ds_read_b32 v2, v236 offset:25272
	ds_read2_b32 v[0:1], v149 offset1:243
	ds_read2_b32 v[8:9], v152 offset0:8 offset1:251
	v_accvgpr_read_b32 v181, a0
	s_waitcnt lgkmcnt(2)
	v_lshrrev_b32_e32 v3, 16, v2
	v_mul_f16_sdwa v4, v61, v3 dst_sel:DWORD dst_unused:UNUSED_PAD src0_sel:WORD_1 src1_sel:DWORD
	v_fma_f16 v4, v61, v2, v4
	v_mul_f16_sdwa v2, v61, v2 dst_sel:DWORD dst_unused:UNUSED_PAD src0_sel:WORD_1 src1_sel:DWORD
	v_fma_f16 v2, v61, v3, -v2
	s_waitcnt lgkmcnt(1)
	v_lshrrev_b32_e32 v3, 16, v1
	v_mul_f16_sdwa v5, v60, v1 dst_sel:DWORD dst_unused:UNUSED_PAD src0_sel:WORD_1 src1_sel:DWORD
	v_fma_f16 v5, v60, v3, -v5
	v_mul_f16_sdwa v3, v60, v3 dst_sel:DWORD dst_unused:UNUSED_PAD src0_sel:WORD_1 src1_sel:DWORD
	v_fma_f16 v3, v60, v1, v3
	v_lshrrev_b32_e32 v1, 16, v0
	v_mul_f16_sdwa v10, v58, v1 dst_sel:DWORD dst_unused:UNUSED_PAD src0_sel:WORD_1 src1_sel:DWORD
	v_fma_f16 v18, v58, v0, v10
	v_mul_f16_sdwa v0, v58, v0 dst_sel:DWORD dst_unused:UNUSED_PAD src0_sel:WORD_1 src1_sel:DWORD
	v_fma_f16 v19, v58, v1, -v0
	s_waitcnt lgkmcnt(0)
	v_lshrrev_b32_e32 v0, 16, v9
	v_mul_f16_sdwa v1, v59, v9 dst_sel:DWORD dst_unused:UNUSED_PAD src0_sel:WORD_1 src1_sel:DWORD
	v_fma_f16 v30, v59, v0, -v1
	v_mul_f16_sdwa v0, v59, v0 dst_sel:DWORD dst_unused:UNUSED_PAD src0_sel:WORD_1 src1_sel:DWORD
	v_fma_f16 v31, v59, v9, v0
	ds_read2_b32 v[0:1], v158 offset0:10 offset1:253
	v_lshrrev_b32_e32 v9, 16, v8
	v_mul_f16_sdwa v10, v57, v9 dst_sel:DWORD dst_unused:UNUSED_PAD src0_sel:WORD_1 src1_sel:DWORD
	v_fma_f16 v36, v57, v8, v10
	v_mul_f16_sdwa v8, v57, v8 dst_sel:DWORD dst_unused:UNUSED_PAD src0_sel:WORD_1 src1_sel:DWORD
	v_fma_f16 v37, v57, v9, -v8
	s_waitcnt lgkmcnt(0)
	v_lshrrev_b32_e32 v8, 16, v1
	v_mul_f16_sdwa v9, v56, v1 dst_sel:DWORD dst_unused:UNUSED_PAD src0_sel:WORD_1 src1_sel:DWORD
	v_fma_f16 v38, v56, v8, -v9
	v_mul_f16_sdwa v8, v56, v8 dst_sel:DWORD dst_unused:UNUSED_PAD src0_sel:WORD_1 src1_sel:DWORD
	v_fma_f16 v39, v56, v1, v8
	ds_read2_b32 v[8:9], v164 offset0:2 offset1:245
	;; [unrolled: 12-line block ×5, first 2 shown]
	v_lshrrev_b32_e32 v9, 16, v8
	v_mul_f16_sdwa v10, v17, v9 dst_sel:DWORD dst_unused:UNUSED_PAD src0_sel:WORD_1 src1_sel:DWORD
	v_fma_f16 v58, v17, v8, v10
	v_mul_f16_sdwa v8, v17, v8 dst_sel:DWORD dst_unused:UNUSED_PAD src0_sel:WORD_1 src1_sel:DWORD
	v_fma_f16 v17, v17, v9, -v8
	s_waitcnt lgkmcnt(0)
	v_lshrrev_b32_e32 v8, 16, v1
	v_mul_f16_sdwa v9, v16, v1 dst_sel:DWORD dst_unused:UNUSED_PAD src0_sel:WORD_1 src1_sel:DWORD
	ds_read2_b32 v[10:11], v178 offset0:6 offset1:249
	v_fma_f16 v59, v16, v8, -v9
	v_mul_f16_sdwa v8, v16, v8 dst_sel:DWORD dst_unused:UNUSED_PAD src0_sel:WORD_1 src1_sel:DWORD
	v_fma_f16 v16, v16, v1, v8
	v_lshrrev_b32_e32 v1, 16, v0
	v_mul_f16_sdwa v8, v24, v1 dst_sel:DWORD dst_unused:UNUSED_PAD src0_sel:WORD_1 src1_sel:DWORD
	v_fma_f16 v60, v24, v0, v8
	v_mul_f16_sdwa v0, v24, v0 dst_sel:DWORD dst_unused:UNUSED_PAD src0_sel:WORD_1 src1_sel:DWORD
	v_fma_f16 v24, v24, v1, -v0
	s_waitcnt lgkmcnt(0)
	v_lshrrev_b32_e32 v0, 16, v11
	v_mul_f16_sdwa v1, v25, v11 dst_sel:DWORD dst_unused:UNUSED_PAD src0_sel:WORD_1 src1_sel:DWORD
	v_fma_f16 v61, v25, v0, -v1
	v_mul_f16_sdwa v0, v25, v0 dst_sel:DWORD dst_unused:UNUSED_PAD src0_sel:WORD_1 src1_sel:DWORD
	v_fma_f16 v25, v25, v11, v0
	v_lshrrev_b32_e32 v0, 16, v10
	ds_read2_b32 v[8:9], v179 offset0:8 offset1:251
	v_mul_f16_sdwa v1, v21, v0 dst_sel:DWORD dst_unused:UNUSED_PAD src0_sel:WORD_1 src1_sel:DWORD
	v_fma_f16 v11, v21, v10, v1
	v_mul_f16_sdwa v1, v21, v10 dst_sel:DWORD dst_unused:UNUSED_PAD src0_sel:WORD_1 src1_sel:DWORD
	v_fma_f16 v10, v21, v0, -v1
	ds_read2_b32 v[0:1], v236 offset1:243
	s_waitcnt lgkmcnt(1)
	v_lshrrev_b32_e32 v12, 16, v9
	v_mul_f16_sdwa v13, v20, v9 dst_sel:DWORD dst_unused:UNUSED_PAD src0_sel:WORD_1 src1_sel:DWORD
	v_fma_f16 v13, v20, v12, -v13
	v_mul_f16_sdwa v12, v20, v12 dst_sel:DWORD dst_unused:UNUSED_PAD src0_sel:WORD_1 src1_sel:DWORD
	v_fma_f16 v9, v20, v9, v12
	s_waitcnt lgkmcnt(0)
	v_lshrrev_b32_e32 v12, 16, v0
	v_add_f16_e32 v14, v12, v13
	v_add_f16_e32 v14, v14, v10
	v_sub_f16_e32 v20, v13, v10
	v_add_f16_e32 v10, v13, v10
	v_fma_f16 v21, v10, -0.5, v12
	v_add_f16_e32 v10, v0, v9
	v_add_f16_e32 v12, v9, v11
	;; [unrolled: 1-line block ×3, first 2 shown]
	v_sub_f16_e32 v9, v9, v11
	v_fma_f16 v0, v12, -0.5, v0
	v_pack_b32_f16 v68, v10, v14
	v_fma_f16 v10, v20, s3, v0
	v_fma_f16 v11, v9, s2, v21
	;; [unrolled: 1-line block ×4, first 2 shown]
	v_pack_b32_f16 v0, v0, v9
	v_pack_b32_f16 v69, v10, v11
	ds_read2_b32 v[10:11], v175 offset0:6 offset1:249
	ds_read2_b32 v[12:13], v167 offset0:12 offset1:255
	;; [unrolled: 1-line block ×3, first 2 shown]
	s_waitcnt lgkmcnt(0)
	s_barrier
	ds_write_b32 v196, v0 offset:72
	v_add_f16_e32 v0, v60, v25
	v_lshrrev_b32_e32 v9, 16, v1
	v_fma_f16 v0, v0, -0.5, v1
	v_add_f16_e32 v1, v1, v60
	v_add_f16_e32 v20, v9, v24
	v_sub_f16_e32 v21, v24, v61
	v_add_f16_e32 v24, v24, v61
	v_add_f16_e32 v20, v20, v61
	v_fma_f16 v9, v24, -0.5, v9
	v_add_f16_e32 v1, v1, v25
	v_sub_f16_e32 v24, v60, v25
	v_pack_b32_f16 v1, v1, v20
	v_fma_f16 v20, v21, s3, v0
	v_fma_f16 v25, v24, s2, v9
	v_pack_b32_f16 v20, v20, v25
	ds_write2_b32 v196, v68, v69 offset1:9
	ds_write2_b32 v201, v1, v20 offset1:9
	v_fma_f16 v0, v21, s2, v0
	v_fma_f16 v1, v24, s3, v9
	v_pack_b32_f16 v0, v0, v1
	ds_write_b32 v201, v0 offset:72
	v_lshrrev_b32_e32 v0, 16, v10
	v_add_f16_e32 v1, v0, v59
	v_add_f16_e32 v1, v1, v17
	v_sub_f16_e32 v9, v59, v17
	v_add_f16_e32 v17, v59, v17
	v_fma_f16 v0, v17, -0.5, v0
	v_add_f16_e32 v17, v10, v16
	v_add_f16_e32 v20, v16, v58
	v_add_f16_e32 v17, v17, v58
	v_sub_f16_e32 v16, v16, v58
	v_fma_f16 v10, v20, -0.5, v10
	v_pack_b32_f16 v1, v17, v1
	v_fma_f16 v17, v9, s3, v10
	v_fma_f16 v20, v16, s2, v0
	v_pack_b32_f16 v17, v17, v20
	ds_write2_b32 v202, v1, v17 offset1:9
	v_fma_f16 v1, v9, s2, v10
	v_fma_f16 v0, v16, s3, v0
	v_pack_b32_f16 v0, v1, v0
	v_lshrrev_b32_e32 v1, 16, v11
	ds_write_b32 v202, v0 offset:72
	v_add_f16_e32 v0, v56, v23
	v_add_f16_e32 v9, v11, v56
	;; [unrolled: 1-line block ×4, first 2 shown]
	v_fma_f16 v0, v0, -0.5, v11
	v_add_f16_e32 v10, v10, v57
	v_sub_f16_e32 v11, v22, v57
	v_fma_f16 v1, v16, -0.5, v1
	v_add_f16_e32 v9, v9, v23
	v_sub_f16_e32 v16, v56, v23
	v_pack_b32_f16 v9, v9, v10
	v_fma_f16 v10, v11, s3, v0
	v_fma_f16 v17, v16, s2, v1
	;; [unrolled: 1-line block ×4, first 2 shown]
	v_pack_b32_f16 v10, v10, v17
	v_pack_b32_f16 v0, v0, v1
	ds_write2_b32 v203, v9, v10 offset1:9
	ds_write_b32 v203, v0 offset:72
	v_lshrrev_b32_e32 v0, 16, v12
	v_add_f16_e32 v10, v55, v53
	v_add_f16_e32 v1, v0, v55
	v_fma_f16 v0, v10, -0.5, v0
	v_add_f16_e32 v10, v12, v52
	v_add_f16_e32 v1, v1, v53
	;; [unrolled: 1-line block ×4, first 2 shown]
	v_sub_f16_e32 v9, v55, v53
	v_sub_f16_e32 v16, v52, v54
	v_pack_b32_f16 v1, v10, v1
	v_fma_f16 v10, v11, -0.5, v12
	v_fma_f16 v11, v9, s3, v10
	v_fma_f16 v12, v16, s2, v0
	v_pack_b32_f16 v11, v11, v12
	ds_write2_b32 v204, v1, v11 offset1:9
	v_fma_f16 v1, v9, s2, v10
	v_fma_f16 v0, v16, s3, v0
	v_pack_b32_f16 v0, v1, v0
	v_lshrrev_b32_e32 v1, 16, v13
	ds_write_b32 v204, v0 offset:72
	v_add_f16_e32 v0, v44, v49
	v_add_f16_e32 v9, v13, v44
	;; [unrolled: 1-line block ×4, first 2 shown]
	v_fma_f16 v0, v0, -0.5, v13
	v_add_f16_e32 v10, v10, v48
	v_sub_f16_e32 v11, v45, v48
	v_fma_f16 v1, v12, -0.5, v1
	v_add_f16_e32 v9, v9, v49
	v_sub_f16_e32 v12, v44, v49
	v_pack_b32_f16 v9, v9, v10
	v_fma_f16 v10, v11, s3, v0
	v_fma_f16 v13, v12, s2, v1
	v_fma_f16 v0, v11, s2, v0
	v_fma_f16 v1, v12, s3, v1
	v_pack_b32_f16 v10, v10, v13
	v_pack_b32_f16 v0, v0, v1
	ds_write2_b32 v205, v9, v10 offset1:9
	ds_write_b32 v205, v0 offset:72
	v_lshrrev_b32_e32 v0, 16, v14
	v_add_f16_e32 v10, v38, v37
	v_add_f16_e32 v1, v0, v38
	v_fma_f16 v0, v10, -0.5, v0
	v_add_f16_e32 v10, v14, v39
	v_add_f16_e32 v1, v1, v37
	;; [unrolled: 1-line block ×4, first 2 shown]
	v_sub_f16_e32 v9, v38, v37
	v_sub_f16_e32 v12, v39, v36
	v_pack_b32_f16 v1, v10, v1
	v_fma_f16 v10, v11, -0.5, v14
	v_fma_f16 v11, v9, s3, v10
	v_fma_f16 v13, v12, s2, v0
	v_pack_b32_f16 v11, v11, v13
	ds_write2_b32 v206, v1, v11 offset1:9
	v_fma_f16 v1, v9, s2, v10
	v_fma_f16 v0, v12, s3, v0
	v_pack_b32_f16 v0, v1, v0
	v_lshrrev_b32_e32 v1, 16, v15
	ds_write_b32 v206, v0 offset:72
	v_add_f16_e32 v0, v18, v31
	v_add_f16_e32 v9, v15, v18
	v_add_f16_e32 v10, v1, v19
	v_add_f16_e32 v12, v19, v30
	v_fma_f16 v0, v0, -0.5, v15
	v_add_f16_e32 v10, v10, v30
	v_sub_f16_e32 v11, v19, v30
	v_fma_f16 v1, v12, -0.5, v1
	v_add_f16_e32 v9, v9, v31
	v_sub_f16_e32 v12, v18, v31
	v_pack_b32_f16 v9, v9, v10
	v_fma_f16 v10, v11, s3, v0
	v_fma_f16 v13, v12, s2, v1
	;; [unrolled: 1-line block ×4, first 2 shown]
	v_pack_b32_f16 v10, v10, v13
	v_pack_b32_f16 v0, v0, v1
	v_lshrrev_b32_e32 v1, 16, v8
	ds_write2_b32 v207, v9, v10 offset1:9
	v_add_f16_e32 v9, v1, v5
	ds_write_b32 v207, v0 offset:72
	v_add_f16_e32 v0, v3, v4
	v_add_f16_e32 v9, v9, v2
	v_sub_f16_e32 v10, v5, v2
	v_add_f16_e32 v2, v5, v2
	v_fma_f16 v0, v0, -0.5, v8
	v_add_f16_e32 v8, v8, v3
	v_fma_f16 v1, v2, -0.5, v1
	v_sub_f16_e32 v3, v3, v4
	v_add_f16_e32 v2, v8, v4
	v_fma_f16 v4, v10, s3, v0
	v_fma_f16 v5, v3, s2, v1
	;; [unrolled: 1-line block ×4, first 2 shown]
	v_pack_b32_f16 v2, v2, v9
	v_pack_b32_f16 v4, v4, v5
	;; [unrolled: 1-line block ×3, first 2 shown]
	ds_write2_b32 v208, v2, v4 offset1:9
	ds_write_b32 v208, v0 offset:72
	s_waitcnt lgkmcnt(0)
	s_barrier
	ds_read_b32 v2, v236 offset:25272
	ds_read2_b32 v[0:1], v149 offset1:243
	ds_read2_b32 v[8:9], v152 offset0:8 offset1:251
	s_waitcnt lgkmcnt(2)
	v_lshrrev_b32_e32 v3, 16, v2
	v_mul_f16_sdwa v4, v79, v3 dst_sel:DWORD dst_unused:UNUSED_PAD src0_sel:WORD_1 src1_sel:DWORD
	v_fma_f16 v4, v79, v2, v4
	v_mul_f16_sdwa v2, v79, v2 dst_sel:DWORD dst_unused:UNUSED_PAD src0_sel:WORD_1 src1_sel:DWORD
	v_fma_f16 v2, v79, v3, -v2
	s_waitcnt lgkmcnt(1)
	v_lshrrev_b32_e32 v3, 16, v1
	v_mul_f16_sdwa v5, v78, v1 dst_sel:DWORD dst_unused:UNUSED_PAD src0_sel:WORD_1 src1_sel:DWORD
	v_fma_f16 v5, v78, v3, -v5
	v_mul_f16_sdwa v3, v78, v3 dst_sel:DWORD dst_unused:UNUSED_PAD src0_sel:WORD_1 src1_sel:DWORD
	v_fma_f16 v3, v78, v1, v3
	v_lshrrev_b32_e32 v1, 16, v0
	v_mul_f16_sdwa v10, v76, v1 dst_sel:DWORD dst_unused:UNUSED_PAD src0_sel:WORD_1 src1_sel:DWORD
	v_fma_f16 v16, v76, v0, v10
	v_mul_f16_sdwa v0, v76, v0 dst_sel:DWORD dst_unused:UNUSED_PAD src0_sel:WORD_1 src1_sel:DWORD
	v_fma_f16 v17, v76, v1, -v0
	s_waitcnt lgkmcnt(0)
	v_lshrrev_b32_e32 v0, 16, v9
	v_mul_f16_sdwa v1, v77, v9 dst_sel:DWORD dst_unused:UNUSED_PAD src0_sel:WORD_1 src1_sel:DWORD
	v_fma_f16 v18, v77, v0, -v1
	v_mul_f16_sdwa v0, v77, v0 dst_sel:DWORD dst_unused:UNUSED_PAD src0_sel:WORD_1 src1_sel:DWORD
	v_fma_f16 v19, v77, v9, v0
	ds_read2_b32 v[0:1], v158 offset0:10 offset1:253
	v_lshrrev_b32_e32 v9, 16, v8
	v_mul_f16_sdwa v10, v75, v9 dst_sel:DWORD dst_unused:UNUSED_PAD src0_sel:WORD_1 src1_sel:DWORD
	v_fma_f16 v20, v75, v8, v10
	v_mul_f16_sdwa v8, v75, v8 dst_sel:DWORD dst_unused:UNUSED_PAD src0_sel:WORD_1 src1_sel:DWORD
	v_fma_f16 v21, v75, v9, -v8
	s_waitcnt lgkmcnt(0)
	v_lshrrev_b32_e32 v8, 16, v1
	v_mul_f16_sdwa v9, v74, v1 dst_sel:DWORD dst_unused:UNUSED_PAD src0_sel:WORD_1 src1_sel:DWORD
	v_fma_f16 v22, v74, v8, -v9
	v_mul_f16_sdwa v8, v74, v8 dst_sel:DWORD dst_unused:UNUSED_PAD src0_sel:WORD_1 src1_sel:DWORD
	v_fma_f16 v23, v74, v1, v8
	ds_read2_b32 v[8:9], v164 offset0:2 offset1:245
	;; [unrolled: 12-line block ×5, first 2 shown]
	v_lshrrev_b32_e32 v9, 16, v8
	v_mul_f16_sdwa v10, v29, v9 dst_sel:DWORD dst_unused:UNUSED_PAD src0_sel:WORD_1 src1_sel:DWORD
	v_fma_f16 v48, v29, v8, v10
	v_mul_f16_sdwa v8, v29, v8 dst_sel:DWORD dst_unused:UNUSED_PAD src0_sel:WORD_1 src1_sel:DWORD
	v_fma_f16 v29, v29, v9, -v8
	s_waitcnt lgkmcnt(0)
	v_lshrrev_b32_e32 v8, 16, v1
	v_mul_f16_sdwa v9, v28, v1 dst_sel:DWORD dst_unused:UNUSED_PAD src0_sel:WORD_1 src1_sel:DWORD
	ds_read2_b32 v[10:11], v178 offset0:6 offset1:249
	v_fma_f16 v49, v28, v8, -v9
	v_mul_f16_sdwa v8, v28, v8 dst_sel:DWORD dst_unused:UNUSED_PAD src0_sel:WORD_1 src1_sel:DWORD
	v_fma_f16 v28, v28, v1, v8
	v_lshrrev_b32_e32 v1, 16, v0
	v_mul_f16_sdwa v8, v32, v1 dst_sel:DWORD dst_unused:UNUSED_PAD src0_sel:WORD_1 src1_sel:DWORD
	v_fma_f16 v52, v32, v0, v8
	v_mul_f16_sdwa v0, v32, v0 dst_sel:DWORD dst_unused:UNUSED_PAD src0_sel:WORD_1 src1_sel:DWORD
	v_fma_f16 v32, v32, v1, -v0
	s_waitcnt lgkmcnt(0)
	v_lshrrev_b32_e32 v0, 16, v11
	v_mul_f16_sdwa v1, v33, v11 dst_sel:DWORD dst_unused:UNUSED_PAD src0_sel:WORD_1 src1_sel:DWORD
	v_fma_f16 v53, v33, v0, -v1
	v_mul_f16_sdwa v0, v33, v0 dst_sel:DWORD dst_unused:UNUSED_PAD src0_sel:WORD_1 src1_sel:DWORD
	v_fma_f16 v33, v33, v11, v0
	v_lshrrev_b32_e32 v0, 16, v10
	ds_read2_b32 v[8:9], v179 offset0:8 offset1:251
	v_mul_f16_sdwa v1, v27, v0 dst_sel:DWORD dst_unused:UNUSED_PAD src0_sel:WORD_1 src1_sel:DWORD
	v_fma_f16 v11, v27, v10, v1
	v_mul_f16_sdwa v1, v27, v10 dst_sel:DWORD dst_unused:UNUSED_PAD src0_sel:WORD_1 src1_sel:DWORD
	v_fma_f16 v10, v27, v0, -v1
	ds_read2_b32 v[0:1], v236 offset1:243
	s_waitcnt lgkmcnt(1)
	v_lshrrev_b32_e32 v12, 16, v9
	v_mul_f16_sdwa v13, v26, v9 dst_sel:DWORD dst_unused:UNUSED_PAD src0_sel:WORD_1 src1_sel:DWORD
	v_fma_f16 v13, v26, v12, -v13
	v_mul_f16_sdwa v12, v26, v12 dst_sel:DWORD dst_unused:UNUSED_PAD src0_sel:WORD_1 src1_sel:DWORD
	v_fma_f16 v9, v26, v9, v12
	s_waitcnt lgkmcnt(0)
	v_lshrrev_b32_e32 v12, 16, v0
	v_add_f16_e32 v14, v12, v13
	v_add_f16_e32 v14, v14, v10
	v_sub_f16_e32 v26, v13, v10
	v_add_f16_e32 v10, v13, v10
	v_fma_f16 v27, v10, -0.5, v12
	v_add_f16_e32 v10, v0, v9
	v_add_f16_e32 v12, v9, v11
	;; [unrolled: 1-line block ×3, first 2 shown]
	v_sub_f16_e32 v9, v9, v11
	v_fma_f16 v0, v12, -0.5, v0
	v_pack_b32_f16 v54, v10, v14
	v_fma_f16 v10, v26, s3, v0
	v_fma_f16 v11, v9, s2, v27
	;; [unrolled: 1-line block ×4, first 2 shown]
	v_pack_b32_f16 v0, v0, v9
	v_pack_b32_f16 v55, v10, v11
	ds_read2_b32 v[10:11], v175 offset0:6 offset1:249
	ds_read2_b32 v[12:13], v167 offset0:12 offset1:255
	;; [unrolled: 1-line block ×3, first 2 shown]
	s_waitcnt lgkmcnt(0)
	s_barrier
	ds_write_b32 v209, v0 offset:216
	v_add_f16_e32 v0, v52, v33
	v_lshrrev_b32_e32 v9, 16, v1
	v_fma_f16 v0, v0, -0.5, v1
	v_add_f16_e32 v1, v1, v52
	v_add_f16_e32 v26, v9, v32
	v_sub_f16_e32 v27, v32, v53
	v_add_f16_e32 v32, v32, v53
	v_add_f16_e32 v26, v26, v53
	v_fma_f16 v9, v32, -0.5, v9
	v_add_f16_e32 v1, v1, v33
	v_sub_f16_e32 v32, v52, v33
	v_pack_b32_f16 v1, v1, v26
	v_fma_f16 v26, v27, s3, v0
	v_fma_f16 v33, v32, s2, v9
	v_pack_b32_f16 v26, v26, v33
	ds_write2_b32 v209, v54, v55 offset1:27
	ds_write2_b32 v210, v1, v26 offset1:27
	v_fma_f16 v0, v27, s2, v0
	v_fma_f16 v1, v32, s3, v9
	v_pack_b32_f16 v0, v0, v1
	ds_write_b32 v210, v0 offset:216
	v_lshrrev_b32_e32 v0, 16, v10
	v_add_f16_e32 v26, v49, v29
	v_add_f16_e32 v1, v0, v49
	v_fma_f16 v0, v26, -0.5, v0
	v_add_f16_e32 v26, v10, v28
	v_add_f16_e32 v27, v28, v48
	;; [unrolled: 1-line block ×3, first 2 shown]
	v_sub_f16_e32 v9, v49, v29
	v_add_f16_e32 v26, v26, v48
	v_sub_f16_e32 v28, v28, v48
	v_fma_f16 v10, v27, -0.5, v10
	v_pack_b32_f16 v1, v26, v1
	v_fma_f16 v26, v9, s3, v10
	v_fma_f16 v27, v28, s2, v0
	v_pack_b32_f16 v26, v26, v27
	ds_write2_b32 v211, v1, v26 offset1:27
	v_fma_f16 v1, v9, s2, v10
	v_fma_f16 v0, v28, s3, v0
	v_pack_b32_f16 v0, v1, v0
	v_lshrrev_b32_e32 v1, 16, v11
	ds_write_b32 v211, v0 offset:216
	v_add_f16_e32 v0, v44, v35
	v_add_f16_e32 v9, v11, v44
	;; [unrolled: 1-line block ×4, first 2 shown]
	v_fma_f16 v0, v0, -0.5, v11
	v_add_f16_e32 v10, v10, v45
	v_sub_f16_e32 v11, v34, v45
	v_fma_f16 v1, v26, -0.5, v1
	v_add_f16_e32 v9, v9, v35
	v_sub_f16_e32 v26, v44, v35
	v_pack_b32_f16 v9, v9, v10
	v_fma_f16 v10, v11, s3, v0
	v_fma_f16 v27, v26, s2, v1
	;; [unrolled: 1-line block ×4, first 2 shown]
	v_pack_b32_f16 v10, v10, v27
	v_pack_b32_f16 v0, v0, v1
	ds_write2_b32 v212, v9, v10 offset1:27
	ds_write_b32 v212, v0 offset:216
	v_lshrrev_b32_e32 v0, 16, v12
	v_add_f16_e32 v10, v38, v37
	v_add_f16_e32 v1, v0, v38
	v_fma_f16 v0, v10, -0.5, v0
	v_add_f16_e32 v10, v12, v39
	v_add_f16_e32 v1, v1, v37
	;; [unrolled: 1-line block ×4, first 2 shown]
	v_sub_f16_e32 v9, v38, v37
	v_sub_f16_e32 v26, v39, v36
	v_pack_b32_f16 v1, v10, v1
	v_fma_f16 v10, v11, -0.5, v12
	v_fma_f16 v11, v9, s3, v10
	v_fma_f16 v12, v26, s2, v0
	v_pack_b32_f16 v11, v11, v12
	ds_write2_b32 v213, v1, v11 offset1:27
	v_fma_f16 v1, v9, s2, v10
	v_fma_f16 v0, v26, s3, v0
	v_pack_b32_f16 v0, v1, v0
	v_lshrrev_b32_e32 v1, 16, v13
	ds_write_b32 v213, v0 offset:216
	v_add_f16_e32 v0, v24, v31
	v_add_f16_e32 v9, v13, v24
	;; [unrolled: 1-line block ×4, first 2 shown]
	v_fma_f16 v0, v0, -0.5, v13
	v_add_f16_e32 v10, v10, v30
	v_sub_f16_e32 v11, v25, v30
	v_fma_f16 v1, v12, -0.5, v1
	v_add_f16_e32 v9, v9, v31
	v_sub_f16_e32 v12, v24, v31
	v_pack_b32_f16 v9, v9, v10
	v_fma_f16 v10, v11, s3, v0
	v_fma_f16 v13, v12, s2, v1
	;; [unrolled: 1-line block ×4, first 2 shown]
	v_pack_b32_f16 v10, v10, v13
	v_pack_b32_f16 v0, v0, v1
	ds_write2_b32 v215, v9, v10 offset1:27
	ds_write_b32 v215, v0 offset:216
	v_lshrrev_b32_e32 v0, 16, v14
	v_add_f16_e32 v10, v22, v21
	v_add_f16_e32 v1, v0, v22
	v_fma_f16 v0, v10, -0.5, v0
	v_add_f16_e32 v10, v14, v23
	v_add_f16_e32 v1, v1, v21
	;; [unrolled: 1-line block ×4, first 2 shown]
	v_sub_f16_e32 v9, v22, v21
	v_sub_f16_e32 v12, v23, v20
	v_pack_b32_f16 v1, v10, v1
	v_fma_f16 v10, v11, -0.5, v14
	v_fma_f16 v11, v9, s3, v10
	v_fma_f16 v13, v12, s2, v0
	v_pack_b32_f16 v11, v11, v13
	ds_write2_b32 v216, v1, v11 offset1:27
	v_fma_f16 v1, v9, s2, v10
	v_fma_f16 v0, v12, s3, v0
	v_pack_b32_f16 v0, v1, v0
	v_lshrrev_b32_e32 v1, 16, v15
	ds_write_b32 v216, v0 offset:216
	v_add_f16_e32 v0, v16, v19
	v_add_f16_e32 v9, v15, v16
	;; [unrolled: 1-line block ×4, first 2 shown]
	v_fma_f16 v0, v0, -0.5, v15
	v_add_f16_e32 v10, v10, v18
	v_sub_f16_e32 v11, v17, v18
	v_fma_f16 v1, v12, -0.5, v1
	v_add_f16_e32 v9, v9, v19
	v_sub_f16_e32 v12, v16, v19
	v_pack_b32_f16 v9, v9, v10
	v_fma_f16 v10, v11, s3, v0
	v_fma_f16 v13, v12, s2, v1
	;; [unrolled: 1-line block ×4, first 2 shown]
	v_pack_b32_f16 v10, v10, v13
	v_pack_b32_f16 v0, v0, v1
	v_lshrrev_b32_e32 v1, 16, v8
	ds_write2_b32 v217, v9, v10 offset1:27
	v_add_f16_e32 v9, v1, v5
	ds_write_b32 v217, v0 offset:216
	v_add_f16_e32 v0, v3, v4
	v_add_f16_e32 v9, v9, v2
	v_sub_f16_e32 v10, v5, v2
	v_add_f16_e32 v2, v5, v2
	v_fma_f16 v0, v0, -0.5, v8
	v_add_f16_e32 v8, v8, v3
	v_fma_f16 v1, v2, -0.5, v1
	v_sub_f16_e32 v3, v3, v4
	v_add_f16_e32 v2, v8, v4
	v_fma_f16 v4, v10, s3, v0
	v_fma_f16 v5, v3, s2, v1
	;; [unrolled: 1-line block ×4, first 2 shown]
	v_pack_b32_f16 v2, v2, v9
	v_pack_b32_f16 v4, v4, v5
	;; [unrolled: 1-line block ×3, first 2 shown]
	ds_write2_b32 v218, v2, v4 offset1:27
	ds_write_b32 v218, v0 offset:216
	s_waitcnt lgkmcnt(0)
	s_barrier
	ds_read_b32 v2, v236 offset:25272
	ds_read2_b32 v[0:1], v149 offset1:243
	ds_read2_b32 v[8:9], v152 offset0:8 offset1:251
	s_waitcnt lgkmcnt(2)
	v_lshrrev_b32_e32 v3, 16, v2
	v_mul_f16_sdwa v4, v93, v3 dst_sel:DWORD dst_unused:UNUSED_PAD src0_sel:WORD_1 src1_sel:DWORD
	v_fma_f16 v4, v93, v2, v4
	v_mul_f16_sdwa v2, v93, v2 dst_sel:DWORD dst_unused:UNUSED_PAD src0_sel:WORD_1 src1_sel:DWORD
	v_fma_f16 v2, v93, v3, -v2
	s_waitcnt lgkmcnt(1)
	v_lshrrev_b32_e32 v3, 16, v1
	v_mul_f16_sdwa v5, v92, v1 dst_sel:DWORD dst_unused:UNUSED_PAD src0_sel:WORD_1 src1_sel:DWORD
	v_fma_f16 v5, v92, v3, -v5
	v_mul_f16_sdwa v3, v92, v3 dst_sel:DWORD dst_unused:UNUSED_PAD src0_sel:WORD_1 src1_sel:DWORD
	v_fma_f16 v3, v92, v1, v3
	v_lshrrev_b32_e32 v1, 16, v0
	v_mul_f16_sdwa v10, v90, v1 dst_sel:DWORD dst_unused:UNUSED_PAD src0_sel:WORD_1 src1_sel:DWORD
	v_fma_f16 v16, v90, v0, v10
	v_mul_f16_sdwa v0, v90, v0 dst_sel:DWORD dst_unused:UNUSED_PAD src0_sel:WORD_1 src1_sel:DWORD
	v_fma_f16 v17, v90, v1, -v0
	s_waitcnt lgkmcnt(0)
	v_lshrrev_b32_e32 v0, 16, v9
	v_mul_f16_sdwa v1, v91, v9 dst_sel:DWORD dst_unused:UNUSED_PAD src0_sel:WORD_1 src1_sel:DWORD
	v_fma_f16 v18, v91, v0, -v1
	v_mul_f16_sdwa v0, v91, v0 dst_sel:DWORD dst_unused:UNUSED_PAD src0_sel:WORD_1 src1_sel:DWORD
	v_fma_f16 v19, v91, v9, v0
	ds_read2_b32 v[0:1], v158 offset0:10 offset1:253
	v_lshrrev_b32_e32 v9, 16, v8
	v_mul_f16_sdwa v10, v87, v9 dst_sel:DWORD dst_unused:UNUSED_PAD src0_sel:WORD_1 src1_sel:DWORD
	v_fma_f16 v20, v87, v8, v10
	v_mul_f16_sdwa v8, v87, v8 dst_sel:DWORD dst_unused:UNUSED_PAD src0_sel:WORD_1 src1_sel:DWORD
	v_fma_f16 v21, v87, v9, -v8
	s_waitcnt lgkmcnt(0)
	v_lshrrev_b32_e32 v8, 16, v1
	v_mul_f16_sdwa v9, v86, v1 dst_sel:DWORD dst_unused:UNUSED_PAD src0_sel:WORD_1 src1_sel:DWORD
	v_fma_f16 v22, v86, v8, -v9
	v_mul_f16_sdwa v8, v86, v8 dst_sel:DWORD dst_unused:UNUSED_PAD src0_sel:WORD_1 src1_sel:DWORD
	v_fma_f16 v23, v86, v1, v8
	ds_read2_b32 v[8:9], v164 offset0:2 offset1:245
	;; [unrolled: 12-line block ×5, first 2 shown]
	v_lshrrev_b32_e32 v9, 16, v8
	v_mul_f16_sdwa v10, v41, v9 dst_sel:DWORD dst_unused:UNUSED_PAD src0_sel:WORD_1 src1_sel:DWORD
	v_fma_f16 v36, v41, v8, v10
	v_mul_f16_sdwa v8, v41, v8 dst_sel:DWORD dst_unused:UNUSED_PAD src0_sel:WORD_1 src1_sel:DWORD
	v_fma_f16 v37, v41, v9, -v8
	s_waitcnt lgkmcnt(0)
	v_lshrrev_b32_e32 v8, 16, v1
	v_mul_f16_sdwa v9, v40, v1 dst_sel:DWORD dst_unused:UNUSED_PAD src0_sel:WORD_1 src1_sel:DWORD
	ds_read2_b32 v[10:11], v178 offset0:6 offset1:249
	v_fma_f16 v38, v40, v8, -v9
	v_mul_f16_sdwa v8, v40, v8 dst_sel:DWORD dst_unused:UNUSED_PAD src0_sel:WORD_1 src1_sel:DWORD
	v_fma_f16 v39, v40, v1, v8
	v_lshrrev_b32_e32 v1, 16, v0
	v_mul_f16_sdwa v8, v50, v1 dst_sel:DWORD dst_unused:UNUSED_PAD src0_sel:WORD_1 src1_sel:DWORD
	v_fma_f16 v40, v50, v0, v8
	v_mul_f16_sdwa v0, v50, v0 dst_sel:DWORD dst_unused:UNUSED_PAD src0_sel:WORD_1 src1_sel:DWORD
	v_fma_f16 v41, v50, v1, -v0
	s_waitcnt lgkmcnt(0)
	v_lshrrev_b32_e32 v0, 16, v11
	v_mul_f16_sdwa v1, v51, v11 dst_sel:DWORD dst_unused:UNUSED_PAD src0_sel:WORD_1 src1_sel:DWORD
	v_fma_f16 v44, v51, v0, -v1
	v_mul_f16_sdwa v0, v51, v0 dst_sel:DWORD dst_unused:UNUSED_PAD src0_sel:WORD_1 src1_sel:DWORD
	v_fma_f16 v45, v51, v11, v0
	v_lshrrev_b32_e32 v0, 16, v10
	ds_read2_b32 v[8:9], v179 offset0:8 offset1:251
	v_mul_f16_sdwa v1, v43, v0 dst_sel:DWORD dst_unused:UNUSED_PAD src0_sel:WORD_1 src1_sel:DWORD
	v_fma_f16 v11, v43, v10, v1
	v_mul_f16_sdwa v1, v43, v10 dst_sel:DWORD dst_unused:UNUSED_PAD src0_sel:WORD_1 src1_sel:DWORD
	v_fma_f16 v10, v43, v0, -v1
	ds_read2_b32 v[0:1], v236 offset1:243
	s_waitcnt lgkmcnt(1)
	v_lshrrev_b32_e32 v12, 16, v9
	v_mul_f16_sdwa v13, v42, v9 dst_sel:DWORD dst_unused:UNUSED_PAD src0_sel:WORD_1 src1_sel:DWORD
	v_fma_f16 v13, v42, v12, -v13
	v_mul_f16_sdwa v12, v42, v12 dst_sel:DWORD dst_unused:UNUSED_PAD src0_sel:WORD_1 src1_sel:DWORD
	v_fma_f16 v9, v42, v9, v12
	s_waitcnt lgkmcnt(0)
	v_lshrrev_b32_e32 v12, 16, v0
	v_add_f16_e32 v14, v12, v13
	v_add_f16_e32 v14, v14, v10
	v_sub_f16_e32 v42, v13, v10
	v_add_f16_e32 v10, v13, v10
	v_fma_f16 v43, v10, -0.5, v12
	v_add_f16_e32 v10, v0, v9
	v_add_f16_e32 v12, v9, v11
	;; [unrolled: 1-line block ×3, first 2 shown]
	v_sub_f16_e32 v9, v9, v11
	v_fma_f16 v0, v12, -0.5, v0
	v_pack_b32_f16 v46, v10, v14
	v_fma_f16 v10, v42, s3, v0
	v_fma_f16 v11, v9, s2, v43
	;; [unrolled: 1-line block ×4, first 2 shown]
	v_pack_b32_f16 v0, v0, v9
	v_pack_b32_f16 v47, v10, v11
	ds_read2_b32 v[10:11], v175 offset0:6 offset1:249
	ds_read2_b32 v[12:13], v167 offset0:12 offset1:255
	;; [unrolled: 1-line block ×3, first 2 shown]
	s_waitcnt lgkmcnt(0)
	s_barrier
	ds_write_b32 v214, v0 offset:648
	v_add_f16_e32 v0, v40, v45
	v_lshrrev_b32_e32 v9, 16, v1
	v_fma_f16 v0, v0, -0.5, v1
	v_add_f16_e32 v1, v1, v40
	v_add_f16_e32 v42, v9, v41
	v_sub_f16_e32 v43, v41, v44
	v_add_f16_e32 v41, v41, v44
	v_add_f16_e32 v42, v42, v44
	v_fma_f16 v9, v41, -0.5, v9
	v_add_f16_e32 v1, v1, v45
	v_sub_f16_e32 v40, v40, v45
	v_pack_b32_f16 v1, v1, v42
	v_fma_f16 v41, v43, s3, v0
	v_fma_f16 v42, v40, s2, v9
	v_pack_b32_f16 v41, v41, v42
	ds_write2_b32 v214, v46, v47 offset1:81
	ds_write2_b32 v219, v1, v41 offset1:81
	v_fma_f16 v0, v43, s2, v0
	v_fma_f16 v1, v40, s3, v9
	v_pack_b32_f16 v0, v0, v1
	ds_write_b32 v219, v0 offset:648
	v_lshrrev_b32_e32 v0, 16, v10
	v_add_f16_e32 v1, v0, v38
	v_add_f16_e32 v1, v1, v37
	v_sub_f16_e32 v9, v38, v37
	v_add_f16_e32 v37, v38, v37
	v_fma_f16 v0, v37, -0.5, v0
	v_add_f16_e32 v37, v10, v39
	v_add_f16_e32 v38, v39, v36
	;; [unrolled: 1-line block ×3, first 2 shown]
	v_sub_f16_e32 v36, v39, v36
	v_fma_f16 v10, v38, -0.5, v10
	v_pack_b32_f16 v1, v37, v1
	v_fma_f16 v37, v9, s3, v10
	v_fma_f16 v38, v36, s2, v0
	v_pack_b32_f16 v37, v37, v38
	ds_write2_b32 v220, v1, v37 offset1:81
	v_fma_f16 v1, v9, s2, v10
	v_fma_f16 v0, v36, s3, v0
	v_pack_b32_f16 v0, v1, v0
	ds_write_b32 v220, v0 offset:648
	v_add_f16_e32 v0, v32, v35
	v_lshrrev_b32_e32 v1, 16, v11
	v_fma_f16 v0, v0, -0.5, v11
	v_add_f16_e32 v9, v11, v32
	v_add_f16_e32 v10, v1, v33
	v_sub_f16_e32 v11, v33, v34
	v_add_f16_e32 v33, v33, v34
	v_add_f16_e32 v10, v10, v34
	v_fma_f16 v1, v33, -0.5, v1
	v_add_f16_e32 v9, v9, v35
	v_sub_f16_e32 v32, v32, v35
	v_pack_b32_f16 v9, v9, v10
	v_fma_f16 v10, v11, s3, v0
	v_fma_f16 v33, v32, s2, v1
	;; [unrolled: 1-line block ×4, first 2 shown]
	v_pack_b32_f16 v10, v10, v33
	v_pack_b32_f16 v0, v0, v1
	ds_write2_b32 v221, v9, v10 offset1:81
	ds_write_b32 v221, v0 offset:648
	v_lshrrev_b32_e32 v0, 16, v12
	v_add_f16_e32 v10, v30, v29
	v_add_f16_e32 v1, v0, v30
	v_fma_f16 v0, v10, -0.5, v0
	v_add_f16_e32 v10, v12, v31
	v_add_f16_e32 v1, v1, v29
	;; [unrolled: 1-line block ×4, first 2 shown]
	v_sub_f16_e32 v9, v30, v29
	v_sub_f16_e32 v28, v31, v28
	v_pack_b32_f16 v1, v10, v1
	v_fma_f16 v10, v11, -0.5, v12
	v_fma_f16 v11, v9, s3, v10
	v_fma_f16 v12, v28, s2, v0
	v_pack_b32_f16 v11, v11, v12
	ds_write2_b32 v222, v1, v11 offset1:81
	v_fma_f16 v1, v9, s2, v10
	v_fma_f16 v0, v28, s3, v0
	v_pack_b32_f16 v0, v1, v0
	v_lshrrev_b32_e32 v1, 16, v13
	ds_write_b32 v222, v0 offset:648
	v_add_f16_e32 v0, v24, v27
	v_add_f16_e32 v9, v13, v24
	;; [unrolled: 1-line block ×4, first 2 shown]
	v_fma_f16 v0, v0, -0.5, v13
	v_add_f16_e32 v10, v10, v26
	v_sub_f16_e32 v11, v25, v26
	v_fma_f16 v1, v12, -0.5, v1
	v_add_f16_e32 v9, v9, v27
	v_sub_f16_e32 v12, v24, v27
	v_pack_b32_f16 v9, v9, v10
	v_fma_f16 v10, v11, s3, v0
	v_fma_f16 v13, v12, s2, v1
	;; [unrolled: 1-line block ×4, first 2 shown]
	v_pack_b32_f16 v10, v10, v13
	v_pack_b32_f16 v0, v0, v1
	ds_write2_b32 v223, v9, v10 offset1:81
	ds_write_b32 v223, v0 offset:648
	v_lshrrev_b32_e32 v0, 16, v14
	v_add_f16_e32 v10, v22, v21
	v_add_f16_e32 v1, v0, v22
	v_fma_f16 v0, v10, -0.5, v0
	v_add_f16_e32 v10, v14, v23
	v_add_f16_e32 v1, v1, v21
	;; [unrolled: 1-line block ×4, first 2 shown]
	v_sub_f16_e32 v9, v22, v21
	v_sub_f16_e32 v12, v23, v20
	v_pack_b32_f16 v1, v10, v1
	v_fma_f16 v10, v11, -0.5, v14
	v_fma_f16 v11, v9, s3, v10
	v_fma_f16 v13, v12, s2, v0
	v_pack_b32_f16 v11, v11, v13
	ds_write2_b32 v224, v1, v11 offset1:81
	v_fma_f16 v1, v9, s2, v10
	v_fma_f16 v0, v12, s3, v0
	v_pack_b32_f16 v0, v1, v0
	v_lshrrev_b32_e32 v1, 16, v15
	ds_write_b32 v224, v0 offset:648
	v_add_f16_e32 v0, v16, v19
	v_add_f16_e32 v9, v15, v16
	;; [unrolled: 1-line block ×4, first 2 shown]
	v_fma_f16 v0, v0, -0.5, v15
	v_add_f16_e32 v10, v10, v18
	v_sub_f16_e32 v11, v17, v18
	v_fma_f16 v1, v12, -0.5, v1
	v_add_f16_e32 v9, v9, v19
	v_sub_f16_e32 v12, v16, v19
	v_pack_b32_f16 v9, v9, v10
	v_fma_f16 v10, v11, s3, v0
	v_fma_f16 v13, v12, s2, v1
	;; [unrolled: 1-line block ×4, first 2 shown]
	v_pack_b32_f16 v10, v10, v13
	v_pack_b32_f16 v0, v0, v1
	v_lshrrev_b32_e32 v1, 16, v8
	ds_write2_b32 v226, v9, v10 offset1:81
	v_add_f16_e32 v9, v1, v5
	ds_write_b32 v226, v0 offset:648
	v_add_f16_e32 v0, v3, v4
	v_add_f16_e32 v9, v9, v2
	v_sub_f16_e32 v10, v5, v2
	v_add_f16_e32 v2, v5, v2
	v_fma_f16 v0, v0, -0.5, v8
	v_add_f16_e32 v8, v8, v3
	v_fma_f16 v1, v2, -0.5, v1
	v_sub_f16_e32 v3, v3, v4
	v_add_f16_e32 v2, v8, v4
	v_fma_f16 v4, v10, s3, v0
	v_fma_f16 v5, v3, s2, v1
	;; [unrolled: 1-line block ×4, first 2 shown]
	v_pack_b32_f16 v2, v2, v9
	v_pack_b32_f16 v4, v4, v5
	;; [unrolled: 1-line block ×3, first 2 shown]
	ds_write2_b32 v227, v2, v4 offset1:81
	ds_write_b32 v227, v0 offset:648
	s_waitcnt lgkmcnt(0)
	s_barrier
	ds_read_b32 v2, v236 offset:25272
	ds_read2_b32 v[0:1], v149 offset1:243
	ds_read2_b32 v[8:9], v152 offset0:8 offset1:251
	s_waitcnt lgkmcnt(2)
	v_lshrrev_b32_e32 v3, 16, v2
	v_mul_f16_sdwa v4, v113, v3 dst_sel:DWORD dst_unused:UNUSED_PAD src0_sel:WORD_1 src1_sel:DWORD
	v_fma_f16 v4, v113, v2, v4
	v_mul_f16_sdwa v2, v113, v2 dst_sel:DWORD dst_unused:UNUSED_PAD src0_sel:WORD_1 src1_sel:DWORD
	v_fma_f16 v2, v113, v3, -v2
	s_waitcnt lgkmcnt(1)
	v_lshrrev_b32_e32 v3, 16, v1
	v_mul_f16_sdwa v5, v112, v1 dst_sel:DWORD dst_unused:UNUSED_PAD src0_sel:WORD_1 src1_sel:DWORD
	v_fma_f16 v5, v112, v3, -v5
	v_mul_f16_sdwa v3, v112, v3 dst_sel:DWORD dst_unused:UNUSED_PAD src0_sel:WORD_1 src1_sel:DWORD
	v_fma_f16 v3, v112, v1, v3
	v_lshrrev_b32_e32 v1, 16, v0
	v_mul_f16_sdwa v10, v110, v1 dst_sel:DWORD dst_unused:UNUSED_PAD src0_sel:WORD_1 src1_sel:DWORD
	v_fma_f16 v16, v110, v0, v10
	v_mul_f16_sdwa v0, v110, v0 dst_sel:DWORD dst_unused:UNUSED_PAD src0_sel:WORD_1 src1_sel:DWORD
	v_fma_f16 v17, v110, v1, -v0
	s_waitcnt lgkmcnt(0)
	v_lshrrev_b32_e32 v0, 16, v9
	v_mul_f16_sdwa v1, v111, v9 dst_sel:DWORD dst_unused:UNUSED_PAD src0_sel:WORD_1 src1_sel:DWORD
	v_fma_f16 v18, v111, v0, -v1
	v_mul_f16_sdwa v0, v111, v0 dst_sel:DWORD dst_unused:UNUSED_PAD src0_sel:WORD_1 src1_sel:DWORD
	v_fma_f16 v19, v111, v9, v0
	ds_read2_b32 v[0:1], v158 offset0:10 offset1:253
	v_lshrrev_b32_e32 v9, 16, v8
	v_mul_f16_sdwa v10, v109, v9 dst_sel:DWORD dst_unused:UNUSED_PAD src0_sel:WORD_1 src1_sel:DWORD
	v_fma_f16 v20, v109, v8, v10
	v_mul_f16_sdwa v8, v109, v8 dst_sel:DWORD dst_unused:UNUSED_PAD src0_sel:WORD_1 src1_sel:DWORD
	v_fma_f16 v21, v109, v9, -v8
	s_waitcnt lgkmcnt(0)
	v_lshrrev_b32_e32 v8, 16, v1
	v_mul_f16_sdwa v9, v108, v1 dst_sel:DWORD dst_unused:UNUSED_PAD src0_sel:WORD_1 src1_sel:DWORD
	v_fma_f16 v22, v108, v8, -v9
	v_mul_f16_sdwa v8, v108, v8 dst_sel:DWORD dst_unused:UNUSED_PAD src0_sel:WORD_1 src1_sel:DWORD
	v_fma_f16 v23, v108, v1, v8
	ds_read2_b32 v[8:9], v164 offset0:2 offset1:245
	;; [unrolled: 12-line block ×5, first 2 shown]
	v_lshrrev_b32_e32 v9, 16, v8
	v_mul_f16_sdwa v10, v95, v9 dst_sel:DWORD dst_unused:UNUSED_PAD src0_sel:WORD_1 src1_sel:DWORD
	v_fma_f16 v36, v95, v8, v10
	v_mul_f16_sdwa v8, v95, v8 dst_sel:DWORD dst_unused:UNUSED_PAD src0_sel:WORD_1 src1_sel:DWORD
	v_fma_f16 v37, v95, v9, -v8
	s_waitcnt lgkmcnt(0)
	v_lshrrev_b32_e32 v8, 16, v1
	v_mul_f16_sdwa v9, v94, v1 dst_sel:DWORD dst_unused:UNUSED_PAD src0_sel:WORD_1 src1_sel:DWORD
	ds_read2_b32 v[10:11], v178 offset0:6 offset1:249
	v_fma_f16 v38, v94, v8, -v9
	v_mul_f16_sdwa v8, v94, v8 dst_sel:DWORD dst_unused:UNUSED_PAD src0_sel:WORD_1 src1_sel:DWORD
	v_fma_f16 v39, v94, v1, v8
	v_lshrrev_b32_e32 v1, 16, v0
	v_mul_f16_sdwa v8, v64, v1 dst_sel:DWORD dst_unused:UNUSED_PAD src0_sel:WORD_1 src1_sel:DWORD
	v_fma_f16 v40, v64, v0, v8
	v_mul_f16_sdwa v0, v64, v0 dst_sel:DWORD dst_unused:UNUSED_PAD src0_sel:WORD_1 src1_sel:DWORD
	v_fma_f16 v41, v64, v1, -v0
	s_waitcnt lgkmcnt(0)
	v_lshrrev_b32_e32 v0, 16, v10
	v_mul_f16_sdwa v1, v65, v10 dst_sel:DWORD dst_unused:UNUSED_PAD src0_sel:WORD_1 src1_sel:DWORD
	v_fma_f16 v12, v65, v0, -v1
	v_mul_f16_sdwa v0, v65, v0 dst_sel:DWORD dst_unused:UNUSED_PAD src0_sel:WORD_1 src1_sel:DWORD
	v_fma_f16 v10, v65, v10, v0
	v_lshrrev_b32_e32 v0, 16, v11
	ds_read2_b32 v[8:9], v179 offset0:8 offset1:251
	v_mul_f16_sdwa v1, v65, v0 dst_sel:DWORD dst_unused:UNUSED_PAD src0_sel:WORD_1 src1_sel:DWORD
	v_fma_f16 v42, v65, v11, v1
	v_mul_f16_sdwa v1, v65, v11 dst_sel:DWORD dst_unused:UNUSED_PAD src0_sel:WORD_1 src1_sel:DWORD
	v_fma_f16 v43, v65, v0, -v1
	ds_read2_b32 v[0:1], v236 offset1:243
	s_waitcnt lgkmcnt(1)
	v_lshrrev_b32_e32 v11, 16, v9
	v_mul_f16_sdwa v13, v64, v9 dst_sel:DWORD dst_unused:UNUSED_PAD src0_sel:WORD_1 src1_sel:DWORD
	v_fma_f16 v13, v64, v11, -v13
	v_mul_f16_sdwa v11, v64, v11 dst_sel:DWORD dst_unused:UNUSED_PAD src0_sel:WORD_1 src1_sel:DWORD
	v_fma_f16 v9, v64, v9, v11
	s_waitcnt lgkmcnt(0)
	v_lshrrev_b32_e32 v11, 16, v0
	v_add_f16_e32 v14, v11, v13
	v_add_f16_e32 v14, v14, v12
	v_sub_f16_e32 v44, v13, v12
	v_add_f16_e32 v12, v13, v12
	v_fma_f16 v45, v12, -0.5, v11
	v_add_f16_e32 v11, v0, v9
	v_add_f16_e32 v12, v9, v10
	v_add_f16_e32 v11, v11, v10
	v_sub_f16_e32 v9, v9, v10
	v_fma_f16 v0, v12, -0.5, v0
	v_pack_b32_f16 v46, v11, v14
	v_fma_f16 v10, v44, s3, v0
	v_fma_f16 v11, v9, s2, v45
	v_fma_f16 v0, v44, s2, v0
	v_fma_f16 v9, v9, s3, v45
	v_add_f16_e32 v44, v40, v42
	v_lshrrev_b32_e32 v45, 16, v1
	v_fma_f16 v44, v44, -0.5, v1
	v_add_f16_e32 v1, v1, v40
	v_pack_b32_f16 v0, v0, v9
	v_add_f16_e32 v9, v45, v41
	v_add_f16_e32 v1, v1, v42
	;; [unrolled: 1-line block ×3, first 2 shown]
	v_pack_b32_f16 v47, v10, v11
	v_pack_b32_f16 v1, v1, v9
	v_add_f16_e32 v9, v41, v43
	ds_read2_b32 v[10:11], v175 offset0:6 offset1:249
	ds_read2_b32 v[12:13], v167 offset0:12 offset1:255
	;; [unrolled: 1-line block ×3, first 2 shown]
	s_waitcnt lgkmcnt(0)
	s_barrier
	ds_write2_b32 v236, v46, v47 offset1:243
	ds_write2_b32 v175, v0, v1 offset0:6 offset1:249
	v_sub_f16_e32 v0, v41, v43
	v_fma_f16 v9, v9, -0.5, v45
	v_sub_f16_e32 v40, v40, v42
	v_fma_f16 v1, v0, s3, v44
	v_fma_f16 v0, v0, s2, v44
	;; [unrolled: 1-line block ×4, first 2 shown]
	v_pack_b32_f16 v1, v1, v41
	v_pack_b32_f16 v0, v0, v9
	ds_write2_b32 v167, v1, v0 offset0:12 offset1:255
	v_lshrrev_b32_e32 v0, 16, v10
	v_add_f16_e32 v1, v0, v38
	v_add_f16_e32 v1, v1, v37
	v_sub_f16_e32 v9, v38, v37
	v_add_f16_e32 v37, v38, v37
	v_fma_f16 v0, v37, -0.5, v0
	v_add_f16_e32 v37, v10, v39
	v_add_f16_e32 v38, v39, v36
	;; [unrolled: 1-line block ×3, first 2 shown]
	v_sub_f16_e32 v36, v39, v36
	v_fma_f16 v10, v38, -0.5, v10
	v_pack_b32_f16 v1, v37, v1
	v_fma_f16 v37, v9, s3, v10
	v_fma_f16 v38, v36, s2, v0
	v_pack_b32_f16 v37, v37, v38
	v_accvgpr_read_b32 v38, a5
	ds_write2_b32 v38, v1, v37 offset0:2 offset1:245
	v_lshrrev_b32_e32 v37, 16, v11
	v_add_f16_e32 v1, v32, v35
	v_add_f16_e32 v38, v37, v33
	v_sub_f16_e32 v39, v33, v34
	v_add_f16_e32 v33, v33, v34
	v_fma_f16 v1, v1, -0.5, v11
	v_add_f16_e32 v11, v11, v32
	v_fma_f16 v33, v33, -0.5, v37
	v_sub_f16_e32 v32, v32, v35
	v_add_f16_e32 v38, v38, v34
	v_add_f16_e32 v11, v11, v35
	v_fma_f16 v34, v39, s3, v1
	v_fma_f16 v35, v32, s2, v33
	v_pack_b32_f16 v11, v11, v38
	v_pack_b32_f16 v34, v34, v35
	v_accvgpr_read_b32 v35, a6
	ds_write2_b32 v35, v11, v34 offset0:11 offset1:254
	v_lshrrev_b32_e32 v11, 16, v12
	v_add_f16_e32 v34, v11, v30
	v_add_f16_e32 v34, v34, v29
	v_sub_f16_e32 v35, v30, v29
	v_add_f16_e32 v29, v30, v29
	v_fma_f16 v11, v29, -0.5, v11
	v_add_f16_e32 v29, v12, v31
	v_add_f16_e32 v30, v31, v28
	;; [unrolled: 1-line block ×3, first 2 shown]
	v_sub_f16_e32 v28, v31, v28
	v_fma_f16 v12, v30, -0.5, v12
	v_fma_f16 v30, v35, s3, v12
	v_fma_f16 v31, v28, s2, v11
	v_pack_b32_f16 v29, v29, v34
	v_pack_b32_f16 v30, v30, v31
	v_accvgpr_read_b32 v31, a7
	ds_write2_b32 v31, v29, v30 offset0:4 offset1:247
	v_lshrrev_b32_e32 v30, 16, v13
	v_add_f16_e32 v29, v24, v27
	v_add_f16_e32 v31, v30, v25
	v_sub_f16_e32 v34, v25, v26
	v_add_f16_e32 v25, v25, v26
	v_fma_f16 v29, v29, -0.5, v13
	v_add_f16_e32 v13, v13, v24
	v_fma_f16 v25, v25, -0.5, v30
	v_sub_f16_e32 v24, v24, v27
	v_add_f16_e32 v31, v31, v26
	v_add_f16_e32 v13, v13, v27
	v_fma_f16 v26, v34, s3, v29
	v_fma_f16 v27, v24, s2, v25
	v_pack_b32_f16 v13, v13, v31
	v_pack_b32_f16 v26, v26, v27
	v_accvgpr_read_b32 v27, a8
	ds_write2_b32 v27, v13, v26 offset0:5 offset1:248
	v_lshrrev_b32_e32 v13, 16, v14
	v_add_f16_e32 v26, v13, v22
	v_add_f16_e32 v26, v26, v21
	v_sub_f16_e32 v27, v22, v21
	v_add_f16_e32 v21, v22, v21
	v_fma_f16 v13, v21, -0.5, v13
	v_add_f16_e32 v21, v14, v23
	v_add_f16_e32 v22, v23, v20
	;; [unrolled: 1-line block ×3, first 2 shown]
	v_sub_f16_e32 v20, v23, v20
	v_fma_f16 v14, v22, -0.5, v14
	v_fma_f16 v22, v27, s3, v14
	v_fma_f16 v23, v20, s2, v13
	v_pack_b32_f16 v21, v21, v26
	v_pack_b32_f16 v22, v22, v23
	ds_write2_b32 v238, v21, v22 offset0:6 offset1:249
	v_lshrrev_b32_e32 v22, 16, v15
	v_add_f16_e32 v21, v16, v19
	v_add_f16_e32 v23, v22, v17
	v_sub_f16_e32 v26, v17, v18
	v_add_f16_e32 v17, v17, v18
	v_fma_f16 v21, v21, -0.5, v15
	v_add_f16_e32 v15, v15, v16
	v_fma_f16 v17, v17, -0.5, v22
	v_sub_f16_e32 v16, v16, v19
	v_add_f16_e32 v23, v23, v18
	v_add_f16_e32 v15, v15, v19
	v_fma_f16 v18, v26, s3, v21
	v_fma_f16 v19, v16, s2, v17
	v_pack_b32_f16 v15, v15, v23
	v_pack_b32_f16 v18, v18, v19
	ds_write2_b32 v239, v15, v18 offset0:7 offset1:250
	v_lshrrev_b32_e32 v18, 16, v8
	v_add_f16_e32 v15, v3, v4
	v_add_f16_e32 v19, v18, v5
	v_fma_f16 v15, v15, -0.5, v8
	v_add_f16_e32 v8, v8, v3
	v_add_f16_e32 v19, v19, v2
	v_sub_f16_e32 v22, v5, v2
	v_add_f16_e32 v2, v5, v2
	v_fma_f16 v2, v2, -0.5, v18
	v_add_f16_e32 v5, v8, v4
	v_sub_f16_e32 v3, v3, v4
	v_pack_b32_f16 v4, v5, v19
	v_fma_f16 v5, v22, s3, v15
	v_fma_f16 v8, v3, s2, v2
	v_pack_b32_f16 v5, v5, v8
	ds_write2_b32 v240, v4, v5 offset0:8 offset1:251
	v_fma_f16 v4, v9, s2, v10
	v_fma_f16 v0, v36, s3, v0
	v_pack_b32_f16 v0, v4, v0
	v_accvgpr_read_b32 v4, a11
	ds_write_b32 v4, v0 offset:7776
	v_fma_f16 v0, v39, s2, v1
	v_fma_f16 v1, v32, s3, v33
	v_pack_b32_f16 v0, v0, v1
	v_accvgpr_read_b32 v1, a10
	ds_write_b32 v1, v0 offset:10692
	;; [unrolled: 5-line block ×3, first 2 shown]
	v_fma_f16 v0, v34, s2, v29
	v_fma_f16 v1, v24, s3, v25
	v_pack_b32_f16 v0, v0, v1
	ds_write_b32 v225, v0 offset:16524
	v_fma_f16 v0, v27, s2, v14
	v_fma_f16 v1, v20, s3, v13
	v_pack_b32_f16 v0, v0, v1
	ds_write_b32 v141, v0 offset:19440
	;; [unrolled: 4-line block ×4, first 2 shown]
	s_waitcnt lgkmcnt(0)
	s_barrier
	ds_read_b32 v2, v236 offset:25272
	ds_read2_b32 v[0:1], v149 offset1:243
	ds_read2_b32 v[8:9], v152 offset0:8 offset1:251
	s_waitcnt lgkmcnt(2)
	v_lshrrev_b32_e32 v3, 16, v2
	v_mul_f16_sdwa v4, v119, v3 dst_sel:DWORD dst_unused:UNUSED_PAD src0_sel:WORD_1 src1_sel:DWORD
	v_fma_f16 v4, v119, v2, v4
	v_mul_f16_sdwa v2, v119, v2 dst_sel:DWORD dst_unused:UNUSED_PAD src0_sel:WORD_1 src1_sel:DWORD
	v_fma_f16 v2, v119, v3, -v2
	s_waitcnt lgkmcnt(1)
	v_lshrrev_b32_e32 v3, 16, v1
	v_mul_f16_sdwa v5, v118, v1 dst_sel:DWORD dst_unused:UNUSED_PAD src0_sel:WORD_1 src1_sel:DWORD
	v_fma_f16 v5, v118, v3, -v5
	v_mul_f16_sdwa v3, v118, v3 dst_sel:DWORD dst_unused:UNUSED_PAD src0_sel:WORD_1 src1_sel:DWORD
	v_fma_f16 v3, v118, v1, v3
	v_lshrrev_b32_e32 v1, 16, v0
	v_mul_f16_sdwa v6, v116, v1 dst_sel:DWORD dst_unused:UNUSED_PAD src0_sel:WORD_1 src1_sel:DWORD
	v_fma_f16 v6, v116, v0, v6
	v_mul_f16_sdwa v0, v116, v0 dst_sel:DWORD dst_unused:UNUSED_PAD src0_sel:WORD_1 src1_sel:DWORD
	v_fma_f16 v14, v116, v1, -v0
	s_waitcnt lgkmcnt(0)
	v_lshrrev_b32_e32 v0, 16, v9
	v_mul_f16_sdwa v1, v117, v9 dst_sel:DWORD dst_unused:UNUSED_PAD src0_sel:WORD_1 src1_sel:DWORD
	v_fma_f16 v15, v117, v0, -v1
	v_mul_f16_sdwa v0, v117, v0 dst_sel:DWORD dst_unused:UNUSED_PAD src0_sel:WORD_1 src1_sel:DWORD
	v_fma_f16 v16, v117, v9, v0
	ds_read2_b32 v[0:1], v158 offset0:10 offset1:253
	v_lshrrev_b32_e32 v9, 16, v8
	v_mul_f16_sdwa v10, v115, v9 dst_sel:DWORD dst_unused:UNUSED_PAD src0_sel:WORD_1 src1_sel:DWORD
	v_fma_f16 v17, v115, v8, v10
	v_mul_f16_sdwa v8, v115, v8 dst_sel:DWORD dst_unused:UNUSED_PAD src0_sel:WORD_1 src1_sel:DWORD
	v_fma_f16 v18, v115, v9, -v8
	s_waitcnt lgkmcnt(0)
	v_lshrrev_b32_e32 v8, 16, v1
	v_mul_f16_sdwa v9, v114, v1 dst_sel:DWORD dst_unused:UNUSED_PAD src0_sel:WORD_1 src1_sel:DWORD
	v_fma_f16 v19, v114, v8, -v9
	v_mul_f16_sdwa v8, v114, v8 dst_sel:DWORD dst_unused:UNUSED_PAD src0_sel:WORD_1 src1_sel:DWORD
	v_fma_f16 v20, v114, v1, v8
	ds_read2_b32 v[8:9], v177 offset0:6 offset1:249
	v_lshrrev_b32_e32 v1, 16, v0
	v_mul_f16_sdwa v10, v104, v1 dst_sel:DWORD dst_unused:UNUSED_PAD src0_sel:WORD_1 src1_sel:DWORD
	v_fma_f16 v21, v104, v0, v10
	v_mul_f16_sdwa v0, v104, v0 dst_sel:DWORD dst_unused:UNUSED_PAD src0_sel:WORD_1 src1_sel:DWORD
	v_fma_f16 v22, v104, v1, -v0
	s_waitcnt lgkmcnt(0)
	v_lshrrev_b32_e32 v10, 16, v9
	ds_read2_b32 v[0:1], v176 offset0:12 offset1:255
	v_mul_f16_sdwa v11, v104, v9 dst_sel:DWORD dst_unused:UNUSED_PAD src0_sel:WORD_1 src1_sel:DWORD
	v_fma_f16 v23, v104, v10, -v11
	v_mul_f16_sdwa v10, v104, v10 dst_sel:DWORD dst_unused:UNUSED_PAD src0_sel:WORD_1 src1_sel:DWORD
	v_fma_f16 v24, v104, v9, v10
	ds_read2_b32 v[10:11], v164 offset0:2 offset1:245
	s_waitcnt lgkmcnt(1)
	v_lshrrev_b32_e32 v9, 16, v0
	v_mul_f16_sdwa v12, v105, v0 dst_sel:DWORD dst_unused:UNUSED_PAD src0_sel:WORD_1 src1_sel:DWORD
	v_fma_f16 v25, v105, v9, -v12
	v_mul_f16_sdwa v9, v105, v9 dst_sel:DWORD dst_unused:UNUSED_PAD src0_sel:WORD_1 src1_sel:DWORD
	v_fma_f16 v26, v105, v0, v9
	s_waitcnt lgkmcnt(0)
	v_lshrrev_b32_e32 v0, 16, v11
	v_mul_f16_sdwa v9, v105, v11 dst_sel:DWORD dst_unused:UNUSED_PAD src0_sel:WORD_1 src1_sel:DWORD
	v_fma_f16 v27, v105, v0, -v9
	v_mul_f16_sdwa v0, v105, v0 dst_sel:DWORD dst_unused:UNUSED_PAD src0_sel:WORD_1 src1_sel:DWORD
	v_fma_f16 v28, v105, v11, v0
	v_lshrrev_b32_e32 v0, 16, v8
	v_mul_f16_sdwa v9, v66, v0 dst_sel:DWORD dst_unused:UNUSED_PAD src0_sel:WORD_1 src1_sel:DWORD
	v_fma_f16 v29, v66, v8, v9
	v_mul_f16_sdwa v8, v66, v8 dst_sel:DWORD dst_unused:UNUSED_PAD src0_sel:WORD_1 src1_sel:DWORD
	v_fma_f16 v30, v66, v0, -v8
	v_lshrrev_b32_e32 v0, 16, v10
	ds_read2_b32 v[8:9], v178 offset0:6 offset1:249
	v_mul_f16_sdwa v11, v67, v0 dst_sel:DWORD dst_unused:UNUSED_PAD src0_sel:WORD_1 src1_sel:DWORD
	v_fma_f16 v31, v67, v10, v11
	v_mul_f16_sdwa v10, v67, v10 dst_sel:DWORD dst_unused:UNUSED_PAD src0_sel:WORD_1 src1_sel:DWORD
	v_fma_f16 v32, v67, v0, -v10
	ds_read2_b32 v[10:11], v170 offset0:4 offset1:247
	s_waitcnt lgkmcnt(1)
	v_lshrrev_b32_e32 v0, 16, v9
	v_mul_f16_sdwa v12, v67, v9 dst_sel:DWORD dst_unused:UNUSED_PAD src0_sel:WORD_1 src1_sel:DWORD
	v_fma_f16 v33, v67, v0, -v12
	v_mul_f16_sdwa v0, v67, v0 dst_sel:DWORD dst_unused:UNUSED_PAD src0_sel:WORD_1 src1_sel:DWORD
	v_fma_f16 v34, v67, v9, v0
	s_waitcnt lgkmcnt(0)
	v_lshrrev_b32_e32 v0, 16, v11
	v_mul_f16_sdwa v9, v66, v11 dst_sel:DWORD dst_unused:UNUSED_PAD src0_sel:WORD_1 src1_sel:DWORD
	v_fma_f16 v35, v66, v0, -v9
	v_mul_f16_sdwa v0, v66, v0 dst_sel:DWORD dst_unused:UNUSED_PAD src0_sel:WORD_1 src1_sel:DWORD
	v_fma_f16 v36, v66, v11, v0
	v_lshrrev_b32_e32 v0, 16, v8
	v_mul_f16_sdwa v9, v63, v0 dst_sel:DWORD dst_unused:UNUSED_PAD src0_sel:WORD_1 src1_sel:DWORD
	v_fma_f16 v11, v63, v8, v9
	v_mul_f16_sdwa v8, v63, v8 dst_sel:DWORD dst_unused:UNUSED_PAD src0_sel:WORD_1 src1_sel:DWORD
	v_fma_f16 v12, v63, v0, -v8
	v_lshrrev_b32_e32 v0, 16, v10
	v_mul_f16_sdwa v8, v62, v0 dst_sel:DWORD dst_unused:UNUSED_PAD src0_sel:WORD_1 src1_sel:DWORD
	v_fma_f16 v37, v62, v10, v8
	v_mul_f16_sdwa v8, v62, v10 dst_sel:DWORD dst_unused:UNUSED_PAD src0_sel:WORD_1 src1_sel:DWORD
	v_fma_f16 v38, v62, v0, -v8
	ds_read2_b32 v[8:9], v179 offset0:8 offset1:251
	v_lshrrev_b32_e32 v0, 16, v1
	v_mul_f16_sdwa v10, v63, v0 dst_sel:DWORD dst_unused:UNUSED_PAD src0_sel:WORD_1 src1_sel:DWORD
	v_fma_f16 v39, v63, v1, v10
	v_mul_f16_sdwa v1, v63, v1 dst_sel:DWORD dst_unused:UNUSED_PAD src0_sel:WORD_1 src1_sel:DWORD
	v_fma_f16 v40, v63, v0, -v1
	ds_read2_b32 v[0:1], v236 offset1:243
	s_waitcnt lgkmcnt(1)
	v_lshrrev_b32_e32 v10, 16, v9
	v_mul_f16_sdwa v13, v62, v9 dst_sel:DWORD dst_unused:UNUSED_PAD src0_sel:WORD_1 src1_sel:DWORD
	v_fma_f16 v13, v62, v10, -v13
	v_mul_f16_sdwa v10, v62, v10 dst_sel:DWORD dst_unused:UNUSED_PAD src0_sel:WORD_1 src1_sel:DWORD
	v_fma_f16 v9, v62, v9, v10
	v_add_f16_e32 v10, v9, v11
	s_waitcnt lgkmcnt(0)
	v_fma_f16 v10, v10, -0.5, v0
	v_sub_f16_e32 v41, v13, v12
	v_fma_f16 v42, v41, s3, v10
	v_fma_f16 v41, v41, s2, v10
	v_lshrrev_b32_e32 v10, 16, v0
	v_add_f16_e32 v43, v10, v13
	v_add_f16_e32 v43, v43, v12
	;; [unrolled: 1-line block ×3, first 2 shown]
	v_fma_f16 v10, v12, -0.5, v10
	v_add_f16_e32 v0, v0, v9
	v_sub_f16_e32 v9, v9, v11
	v_add_f16_e32 v0, v0, v11
	v_fma_f16 v11, v9, s2, v10
	v_fma_f16 v9, v9, s3, v10
	v_lshrrev_b32_e32 v45, 16, v1
	v_add_f16_e32 v10, v29, v34
	v_add_f16_e32 v46, v1, v29
	v_pack_b32_f16 v9, v41, v9
	v_add_f16_e32 v41, v45, v30
	v_fma_f16 v44, v10, -0.5, v1
	v_pack_b32_f16 v43, v0, v43
	v_pack_b32_f16 v42, v42, v11
	ds_read2_b32 v[0:1], v175 offset0:6 offset1:249
	ds_read2_b32 v[10:11], v167 offset0:12 offset1:255
	;; [unrolled: 1-line block ×3, first 2 shown]
	s_waitcnt lgkmcnt(0)
	s_barrier
	ds_write_b32 v236, v9 offset:5832
	v_add_f16_e32 v9, v46, v34
	v_add_f16_e32 v41, v41, v33
	v_pack_b32_f16 v9, v9, v41
	ds_write_b32 v236, v42 offset:2916
	ds_write2_b32 v236, v43, v9 offset1:243
	v_sub_f16_e32 v9, v30, v33
	v_add_f16_e32 v30, v30, v33
	v_fma_f16 v30, v30, -0.5, v45
	v_sub_f16_e32 v29, v29, v34
	v_fma_f16 v33, v29, s2, v30
	v_fma_f16 v29, v29, s3, v30
	v_lshrrev_b32_e32 v30, 16, v0
	v_add_f16_e32 v34, v30, v23
	v_fma_f16 v41, v9, s3, v44
	v_fma_f16 v9, v9, s2, v44
	v_add_f16_e32 v34, v34, v25
	v_sub_f16_e32 v42, v23, v25
	v_add_f16_e32 v23, v23, v25
	v_add_f16_e32 v25, v0, v24
	v_fma_f16 v23, v23, -0.5, v30
	v_add_f16_e32 v25, v25, v26
	v_add_f16_e32 v30, v24, v26
	v_pack_b32_f16 v9, v9, v29
	v_sub_f16_e32 v24, v24, v26
	ds_write_b32 v236, v9 offset:6804
	v_pack_b32_f16 v9, v25, v34
	v_fma_f16 v0, v30, -0.5, v0
	ds_write_b32 v236, v9 offset:1944
	v_fma_f16 v9, v42, s3, v0
	v_fma_f16 v25, v24, s2, v23
	v_pack_b32_f16 v26, v41, v33
	v_pack_b32_f16 v9, v9, v25
	ds_write2_b32 v167, v26, v9 offset0:12 offset1:255
	v_fma_f16 v0, v42, s2, v0
	v_fma_f16 v9, v24, s3, v23
	v_add_f16_e32 v23, v37, v39
	v_lshrrev_b32_e32 v24, 16, v1
	v_fma_f16 v23, v23, -0.5, v1
	v_add_f16_e32 v1, v1, v37
	v_pack_b32_f16 v0, v0, v9
	v_add_f16_e32 v9, v24, v38
	v_add_f16_e32 v1, v1, v39
	;; [unrolled: 1-line block ×3, first 2 shown]
	v_pack_b32_f16 v1, v1, v9
	ds_write2_b32 v179, v0, v1 offset0:8 offset1:251
	v_add_f16_e32 v1, v38, v40
	v_sub_f16_e32 v0, v38, v40
	v_fma_f16 v1, v1, -0.5, v24
	v_sub_f16_e32 v9, v37, v39
	v_fma_f16 v24, v0, s3, v23
	v_fma_f16 v25, v9, s2, v1
	v_pack_b32_f16 v24, v24, v25
	v_add_f16_e32 v25, v36, v31
	v_lshrrev_b32_e32 v26, 16, v10
	v_add_f16_e32 v29, v35, v32
	v_fma_f16 v25, v25, -0.5, v10
	v_fma_f16 v29, v29, -0.5, v26
	v_sub_f16_e32 v30, v35, v32
	v_sub_f16_e32 v34, v36, v31
	v_fma_f16 v33, v30, s3, v25
	v_fma_f16 v37, v34, s2, v29
	v_pack_b32_f16 v33, v33, v37
	ds_write2_b32 v170, v24, v33 offset0:4 offset1:247
	v_add_f16_e32 v10, v10, v36
	v_add_f16_e32 v24, v26, v35
	;; [unrolled: 1-line block ×5, first 2 shown]
	v_lshrrev_b32_e32 v31, 16, v11
	v_fma_f16 v26, v26, -0.5, v11
	v_add_f16_e32 v11, v11, v21
	v_pack_b32_f16 v10, v10, v24
	v_add_f16_e32 v24, v31, v22
	v_add_f16_e32 v11, v11, v28
	;; [unrolled: 1-line block ×3, first 2 shown]
	v_pack_b32_f16 v11, v11, v24
	ds_write2_b32 v177, v10, v11 offset0:6 offset1:249
	v_add_f16_e32 v10, v22, v27
	v_fma_f16 v0, v0, s2, v23
	v_fma_f16 v1, v9, s3, v1
	v_sub_f16_e32 v9, v22, v27
	v_fma_f16 v10, v10, -0.5, v31
	v_sub_f16_e32 v11, v21, v28
	v_pack_b32_f16 v0, v0, v1
	v_fma_f16 v1, v9, s3, v26
	v_fma_f16 v21, v11, s2, v10
	v_pack_b32_f16 v1, v1, v21
	ds_write2_b32 v158, v1, v0 offset0:10 offset1:253
	v_fma_f16 v0, v30, s2, v25
	v_fma_f16 v1, v34, s3, v29
	;; [unrolled: 1-line block ×4, first 2 shown]
	v_pack_b32_f16 v0, v0, v1
	v_pack_b32_f16 v1, v9, v10
	ds_write2_b32 v149, v0, v1 offset1:243
	v_add_f16_e32 v0, v20, v17
	v_fma_f16 v0, v0, -0.5, v12
	v_sub_f16_e32 v1, v19, v18
	v_fma_f16 v9, v1, s3, v0
	v_fma_f16 v0, v1, s2, v0
	v_lshrrev_b32_e32 v1, 16, v12
	v_add_f16_e32 v11, v19, v18
	v_add_f16_e32 v10, v1, v19
	v_fma_f16 v1, v11, -0.5, v1
	v_add_f16_e32 v11, v12, v20
	v_sub_f16_e32 v12, v20, v17
	v_add_f16_e32 v11, v11, v17
	v_fma_f16 v17, v12, s2, v1
	v_fma_f16 v1, v12, s3, v1
	v_add_f16_e32 v10, v10, v18
	v_pack_b32_f16 v0, v0, v1
	v_pack_b32_f16 v10, v11, v10
	ds_write_b32 v243, v0 offset:23328
	v_add_f16_e32 v0, v6, v16
	ds_write_b32 v243, v10 offset:17496
	v_pack_b32_f16 v9, v9, v17
	v_fma_f16 v0, v0, -0.5, v13
	v_lshrrev_b32_e32 v1, 16, v13
	v_sub_f16_e32 v10, v14, v15
	v_add_f16_e32 v12, v14, v15
	ds_write_b32 v243, v9 offset:20412
	v_add_f16_e32 v9, v13, v6
	v_fma_f16 v11, v10, s3, v0
	v_fma_f16 v0, v10, s2, v0
	v_add_f16_e32 v10, v1, v14
	v_fma_f16 v1, v12, -0.5, v1
	v_sub_f16_e32 v6, v6, v16
	v_add_f16_e32 v10, v10, v15
	v_add_f16_e32 v9, v9, v16
	v_fma_f16 v12, v6, s2, v1
	v_fma_f16 v1, v6, s3, v1
	v_pack_b32_f16 v6, v9, v10
	v_pack_b32_f16 v0, v0, v1
	ds_write_b32 v242, v6 offset:17496
	v_pack_b32_f16 v6, v11, v12
	ds_write_b32 v242, v0 offset:23328
	v_add_f16_e32 v0, v3, v4
	ds_write_b32 v242, v6 offset:20412
	v_fma_f16 v0, v0, -0.5, v8
	v_lshrrev_b32_e32 v1, 16, v8
	v_add_f16_e32 v6, v8, v3
	v_sub_f16_e32 v8, v5, v2
	v_fma_f16 v9, v8, s3, v0
	v_fma_f16 v0, v8, s2, v0
	v_add_f16_e32 v8, v1, v5
	v_add_f16_e32 v8, v8, v2
	;; [unrolled: 1-line block ×3, first 2 shown]
	v_fma_f16 v1, v2, -0.5, v1
	v_add_f16_e32 v2, v6, v4
	v_sub_f16_e32 v3, v3, v4
	v_fma_f16 v4, v3, s2, v1
	v_fma_f16 v1, v3, s3, v1
	v_pack_b32_f16 v2, v2, v8
	ds_write_b32 v241, v2 offset:17496
	v_pack_b32_f16 v2, v9, v4
	v_pack_b32_f16 v0, v0, v1
	ds_write_b32 v241, v2 offset:20412
	ds_write_b32 v241, v0 offset:23328
	s_waitcnt lgkmcnt(0)
	s_barrier
	ds_read_b32 v2, v236 offset:25272
	ds_read2_b32 v[0:1], v149 offset1:243
	ds_read2_b32 v[8:9], v152 offset0:8 offset1:251
	s_waitcnt lgkmcnt(2)
	v_lshrrev_b32_e32 v3, 16, v2
	v_mul_f16_sdwa v4, v129, v3 dst_sel:DWORD dst_unused:UNUSED_PAD src0_sel:WORD_1 src1_sel:DWORD
	v_fma_f16 v4, v129, v2, v4
	v_mul_f16_sdwa v2, v129, v2 dst_sel:DWORD dst_unused:UNUSED_PAD src0_sel:WORD_1 src1_sel:DWORD
	v_fma_f16 v2, v129, v3, -v2
	s_waitcnt lgkmcnt(1)
	v_lshrrev_b32_e32 v3, 16, v1
	v_mul_f16_sdwa v5, v128, v1 dst_sel:DWORD dst_unused:UNUSED_PAD src0_sel:WORD_1 src1_sel:DWORD
	v_fma_f16 v5, v128, v3, -v5
	v_mul_f16_sdwa v3, v128, v3 dst_sel:DWORD dst_unused:UNUSED_PAD src0_sel:WORD_1 src1_sel:DWORD
	v_fma_f16 v3, v128, v1, v3
	v_lshrrev_b32_e32 v1, 16, v0
	v_mul_f16_sdwa v6, v126, v1 dst_sel:DWORD dst_unused:UNUSED_PAD src0_sel:WORD_1 src1_sel:DWORD
	v_fma_f16 v6, v126, v0, v6
	v_mul_f16_sdwa v0, v126, v0 dst_sel:DWORD dst_unused:UNUSED_PAD src0_sel:WORD_1 src1_sel:DWORD
	v_fma_f16 v14, v126, v1, -v0
	s_waitcnt lgkmcnt(0)
	v_lshrrev_b32_e32 v0, 16, v9
	v_mul_f16_sdwa v1, v127, v9 dst_sel:DWORD dst_unused:UNUSED_PAD src0_sel:WORD_1 src1_sel:DWORD
	v_fma_f16 v15, v127, v0, -v1
	v_mul_f16_sdwa v0, v127, v0 dst_sel:DWORD dst_unused:UNUSED_PAD src0_sel:WORD_1 src1_sel:DWORD
	v_fma_f16 v16, v127, v9, v0
	ds_read2_b32 v[0:1], v158 offset0:10 offset1:253
	v_lshrrev_b32_e32 v9, 16, v8
	v_mul_f16_sdwa v10, v125, v9 dst_sel:DWORD dst_unused:UNUSED_PAD src0_sel:WORD_1 src1_sel:DWORD
	v_fma_f16 v17, v125, v8, v10
	v_mul_f16_sdwa v8, v125, v8 dst_sel:DWORD dst_unused:UNUSED_PAD src0_sel:WORD_1 src1_sel:DWORD
	v_fma_f16 v18, v125, v9, -v8
	s_waitcnt lgkmcnt(0)
	v_lshrrev_b32_e32 v8, 16, v1
	v_mul_f16_sdwa v9, v124, v1 dst_sel:DWORD dst_unused:UNUSED_PAD src0_sel:WORD_1 src1_sel:DWORD
	v_fma_f16 v19, v124, v8, -v9
	v_mul_f16_sdwa v8, v124, v8 dst_sel:DWORD dst_unused:UNUSED_PAD src0_sel:WORD_1 src1_sel:DWORD
	v_fma_f16 v20, v124, v1, v8
	ds_read2_b32 v[8:9], v164 offset0:2 offset1:245
	;; [unrolled: 12-line block ×5, first 2 shown]
	v_lshrrev_b32_e32 v9, 16, v8
	v_mul_f16_sdwa v10, v97, v9 dst_sel:DWORD dst_unused:UNUSED_PAD src0_sel:WORD_1 src1_sel:DWORD
	v_fma_f16 v33, v97, v8, v10
	v_mul_f16_sdwa v8, v97, v8 dst_sel:DWORD dst_unused:UNUSED_PAD src0_sel:WORD_1 src1_sel:DWORD
	v_fma_f16 v34, v97, v9, -v8
	s_waitcnt lgkmcnt(0)
	v_lshrrev_b32_e32 v8, 16, v1
	v_mul_f16_sdwa v9, v96, v1 dst_sel:DWORD dst_unused:UNUSED_PAD src0_sel:WORD_1 src1_sel:DWORD
	ds_read2_b32 v[10:11], v178 offset0:6 offset1:249
	v_fma_f16 v35, v96, v8, -v9
	v_mul_f16_sdwa v8, v96, v8 dst_sel:DWORD dst_unused:UNUSED_PAD src0_sel:WORD_1 src1_sel:DWORD
	v_fma_f16 v36, v96, v1, v8
	v_lshrrev_b32_e32 v1, 16, v0
	v_mul_f16_sdwa v8, v88, v1 dst_sel:DWORD dst_unused:UNUSED_PAD src0_sel:WORD_1 src1_sel:DWORD
	v_fma_f16 v37, v88, v0, v8
	v_mul_f16_sdwa v0, v88, v0 dst_sel:DWORD dst_unused:UNUSED_PAD src0_sel:WORD_1 src1_sel:DWORD
	v_fma_f16 v38, v88, v1, -v0
	s_waitcnt lgkmcnt(0)
	v_lshrrev_b32_e32 v0, 16, v11
	v_mul_f16_sdwa v1, v89, v11 dst_sel:DWORD dst_unused:UNUSED_PAD src0_sel:WORD_1 src1_sel:DWORD
	v_fma_f16 v39, v89, v0, -v1
	v_mul_f16_sdwa v0, v89, v0 dst_sel:DWORD dst_unused:UNUSED_PAD src0_sel:WORD_1 src1_sel:DWORD
	ds_read2_b32 v[8:9], v179 offset0:8 offset1:251
	v_fma_f16 v40, v89, v11, v0
	v_lshrrev_b32_e32 v0, 16, v10
	v_mul_f16_sdwa v1, v85, v0 dst_sel:DWORD dst_unused:UNUSED_PAD src0_sel:WORD_1 src1_sel:DWORD
	v_fma_f16 v11, v85, v10, v1
	v_mul_f16_sdwa v1, v85, v10 dst_sel:DWORD dst_unused:UNUSED_PAD src0_sel:WORD_1 src1_sel:DWORD
	v_fma_f16 v10, v85, v0, -v1
	ds_read2_b32 v[0:1], v236 offset1:243
	s_waitcnt lgkmcnt(1)
	v_lshrrev_b32_e32 v12, 16, v9
	v_mul_f16_sdwa v13, v84, v9 dst_sel:DWORD dst_unused:UNUSED_PAD src0_sel:WORD_1 src1_sel:DWORD
	v_fma_f16 v13, v84, v12, -v13
	v_mul_f16_sdwa v12, v84, v12 dst_sel:DWORD dst_unused:UNUSED_PAD src0_sel:WORD_1 src1_sel:DWORD
	v_fma_f16 v9, v84, v9, v12
	v_add_f16_e32 v12, v9, v11
	s_waitcnt lgkmcnt(0)
	v_fma_f16 v12, v12, -0.5, v0
	v_sub_f16_e32 v41, v13, v10
	v_fma_f16 v42, v41, s3, v12
	v_fma_f16 v12, v41, s2, v12
	v_lshrrev_b32_e32 v41, 16, v0
	v_add_f16_e32 v43, v41, v13
	v_add_f16_e32 v43, v43, v10
	v_add_f16_e32 v10, v13, v10
	v_fma_f16 v10, v10, -0.5, v41
	v_add_f16_e32 v0, v0, v9
	v_sub_f16_e32 v9, v9, v11
	v_add_f16_e32 v0, v0, v11
	v_fma_f16 v11, v9, s2, v10
	v_fma_f16 v9, v9, s3, v10
	v_add_f16_e32 v10, v37, v40
	v_pack_b32_f16 v43, v0, v43
	v_pack_b32_f16 v0, v42, v11
	v_fma_f16 v41, v10, -0.5, v1
	v_lshrrev_b32_e32 v44, 16, v1
	v_add_f16_e32 v1, v1, v37
	ds_write_b32 v236, v0 offset:8748
	v_pack_b32_f16 v0, v12, v9
	ds_write_b32 v236, v0 offset:17496
	v_add_f16_e32 v0, v1, v40
	v_add_f16_e32 v1, v44, v38
	;; [unrolled: 1-line block ×3, first 2 shown]
	v_pack_b32_f16 v9, v0, v1
	ds_read2_b32 v[0:1], v175 offset0:6 offset1:249
	ds_read2_b32 v[10:11], v167 offset0:12 offset1:255
	;; [unrolled: 1-line block ×3, first 2 shown]
	ds_write2_b32 v236, v43, v9 offset1:243
	v_sub_f16_e32 v9, v38, v39
	v_add_f16_e32 v38, v38, v39
	v_fma_f16 v38, v38, -0.5, v44
	v_sub_f16_e32 v37, v37, v40
	v_fma_f16 v39, v9, s2, v41
	v_fma_f16 v40, v37, s3, v38
	v_pack_b32_f16 v39, v39, v40
	v_add_f16_e32 v40, v36, v33
	s_waitcnt lgkmcnt(3)
	v_lshrrev_b32_e32 v42, 16, v0
	v_add_f16_e32 v43, v35, v34
	v_fma_f16 v40, v40, -0.5, v0
	v_fma_f16 v43, v43, -0.5, v42
	v_sub_f16_e32 v44, v35, v34
	v_sub_f16_e32 v46, v36, v33
	v_fma_f16 v45, v44, s2, v40
	v_fma_f16 v47, v46, s3, v43
	v_pack_b32_f16 v45, v45, v47
	ds_write2_b32 v228, v39, v45 offset0:9 offset1:252
	v_add_f16_e32 v39, v29, v32
	v_fma_f16 v39, v39, -0.5, v1
	v_lshrrev_b32_e32 v45, 16, v1
	v_add_f16_e32 v47, v30, v31
	v_sub_f16_e32 v50, v29, v32
	v_add_f16_e32 v0, v0, v36
	v_add_f16_e32 v1, v1, v29
	v_fma_f16 v9, v9, s3, v41
	v_fma_f16 v29, v37, s2, v38
	;; [unrolled: 1-line block ×4, first 2 shown]
	v_fma_f16 v47, v47, -0.5, v45
	v_sub_f16_e32 v48, v30, v31
	v_pack_b32_f16 v9, v9, v29
	v_pack_b32_f16 v29, v36, v37
	v_fma_f16 v49, v48, s2, v39
	v_fma_f16 v51, v50, s3, v47
	ds_write2_b32 v177, v9, v29 offset0:6 offset1:249
	v_add_f16_e32 v9, v42, v35
	v_add_f16_e32 v29, v45, v30
	v_pack_b32_f16 v49, v49, v51
	v_add_f16_e32 v51, v28, v25
	s_waitcnt lgkmcnt(4)
	v_lshrrev_b32_e32 v52, 16, v10
	v_add_f16_e32 v53, v27, v26
	v_add_f16_e32 v0, v0, v33
	;; [unrolled: 1-line block ×5, first 2 shown]
	v_fma_f16 v51, v51, -0.5, v10
	v_fma_f16 v53, v53, -0.5, v52
	v_sub_f16_e32 v54, v27, v26
	v_sub_f16_e32 v56, v28, v25
	v_pack_b32_f16 v0, v0, v9
	v_pack_b32_f16 v1, v1, v29
	ds_write2_b32 v175, v0, v1 offset0:6 offset1:249
	v_fma_f16 v0, v48, s3, v39
	v_fma_f16 v1, v50, s2, v47
	;; [unrolled: 1-line block ×4, first 2 shown]
	v_pack_b32_f16 v0, v0, v1
	v_pack_b32_f16 v1, v9, v29
	ds_write2_b32 v170, v0, v1 offset0:4 offset1:247
	v_add_f16_e32 v0, v10, v28
	v_add_f16_e32 v9, v21, v24
	;; [unrolled: 1-line block ×4, first 2 shown]
	v_fma_f16 v9, v9, -0.5, v11
	v_lshrrev_b32_e32 v10, 16, v11
	v_sub_f16_e32 v25, v22, v23
	v_add_f16_e32 v1, v1, v26
	v_fma_f16 v26, v25, s3, v9
	v_fma_f16 v9, v25, s2, v9
	v_add_f16_e32 v25, v10, v22
	v_add_f16_e32 v22, v22, v23
	;; [unrolled: 1-line block ×3, first 2 shown]
	v_fma_f16 v10, v22, -0.5, v10
	v_sub_f16_e32 v21, v21, v24
	v_fma_f16 v22, v21, s2, v10
	v_fma_f16 v10, v21, s3, v10
	v_add_f16_e32 v21, v20, v17
	v_add_f16_e32 v25, v25, v23
	s_waitcnt lgkmcnt(5)
	v_fma_f16 v21, v21, -0.5, v12
	v_sub_f16_e32 v23, v19, v18
	v_add_f16_e32 v11, v11, v24
	v_fma_f16 v24, v23, s3, v21
	v_fma_f16 v21, v23, s2, v21
	v_lshrrev_b32_e32 v23, 16, v12
	v_add_f16_e32 v27, v23, v19
	v_add_f16_e32 v27, v27, v18
	;; [unrolled: 1-line block ×4, first 2 shown]
	v_fma_f16 v18, v18, -0.5, v23
	v_add_f16_e32 v12, v12, v17
	v_sub_f16_e32 v17, v20, v17
	v_fma_f16 v19, v17, s2, v18
	v_fma_f16 v17, v17, s3, v18
	v_add_f16_e32 v18, v6, v16
	v_fma_f16 v18, v18, -0.5, v13
	v_lshrrev_b32_e32 v20, 16, v13
	v_sub_f16_e32 v23, v14, v15
	v_fma_f16 v28, v23, s3, v18
	v_fma_f16 v18, v23, s2, v18
	v_add_f16_e32 v23, v20, v14
	v_add_f16_e32 v14, v14, v15
	v_add_f16_e32 v13, v13, v6
	v_fma_f16 v14, v14, -0.5, v20
	v_sub_f16_e32 v6, v6, v16
	v_add_f16_e32 v23, v23, v15
	v_fma_f16 v15, v6, s2, v14
	v_fma_f16 v6, v6, s3, v14
	v_add_f16_e32 v14, v3, v4
	v_add_f16_e32 v13, v13, v16
	v_fma_f16 v14, v14, -0.5, v8
	v_lshrrev_b32_e32 v16, 16, v8
	v_sub_f16_e32 v20, v5, v2
	v_add_f16_e32 v8, v8, v3
	v_fma_f16 v29, v20, s3, v14
	v_fma_f16 v14, v20, s2, v14
	v_add_f16_e32 v20, v16, v5
	v_pack_b32_f16 v0, v0, v1
	v_pack_b32_f16 v1, v11, v25
	v_add_f16_e32 v20, v20, v2
	v_add_f16_e32 v2, v5, v2
	;; [unrolled: 1-line block ×3, first 2 shown]
	ds_write2_b32 v167, v0, v1 offset0:12 offset1:255
	v_pack_b32_f16 v0, v26, v22
	v_pack_b32_f16 v8, v24, v19
	v_fma_f16 v2, v2, -0.5, v16
	v_sub_f16_e32 v3, v3, v4
	v_pack_b32_f16 v1, v9, v10
	ds_write2_b32 v158, v0, v8 offset0:10 offset1:253
	v_pack_b32_f16 v0, v21, v17
	v_fma_f16 v4, v3, s2, v2
	v_fma_f16 v2, v3, s3, v2
	v_pack_b32_f16 v3, v12, v27
	ds_write2_b32 v229, v1, v0 offset0:5 offset1:248
	v_pack_b32_f16 v0, v13, v23
	ds_write2_b32 v155, v3, v0 offset0:2 offset1:245
	v_pack_b32_f16 v3, v5, v20
	v_fma_f16 v55, v54, s2, v51
	v_fma_f16 v57, v56, s3, v53
	v_pack_b32_f16 v0, v28, v15
	ds_write_b32 v236, v3 offset:7776
	v_pack_b32_f16 v3, v29, v4
	v_pack_b32_f16 v55, v55, v57
	;; [unrolled: 1-line block ×3, first 2 shown]
	ds_write2_b32 v149, v0, v3 offset1:243
	v_pack_b32_f16 v0, v14, v2
	ds_write2_b32 v231, v49, v55 offset0:7 offset1:250
	ds_write2_b32 v230, v1, v0 offset0:11 offset1:254
	s_waitcnt lgkmcnt(0)
	s_barrier
	ds_read2_b32 v[8:9], v236 offset1:243
	s_mov_b32 s2, 0x3fb013fb
	s_mov_b32 s3, 0x3f23fb01
	v_mov_b32_e32 v1, s1
	s_waitcnt lgkmcnt(0)
	v_lshrrev_b32_e32 v2, 16, v8
	v_mul_f16_sdwa v0, v7, v2 dst_sel:DWORD dst_unused:UNUSED_PAD src0_sel:WORD_1 src1_sel:DWORD
	v_fma_f16 v0, v7, v8, v0
	v_cvt_f32_f16_e32 v3, v0
	v_mov_b32_e32 v0, s0
	v_mul_f16_sdwa v8, v7, v8 dst_sel:DWORD dst_unused:UNUSED_PAD src0_sel:WORD_1 src1_sel:DWORD
	v_fma_f16 v2, v7, v2, -v8
	v_cvt_f64_f32_e32 v[10:11], v3
	v_mul_f64 v[10:11], v[10:11], s[2:3]
	v_and_or_b32 v3, v11, s8, v10
	v_cmp_ne_u32_e32 vcc, 0, v3
	v_lshrrev_b32_e32 v4, 8, v11
	v_bfe_u32 v5, v11, 20, 11
	v_cndmask_b32_e64 v3, 0, 1, vcc
	v_and_or_b32 v4, v4, s9, v3
	v_sub_u32_e32 v6, 0x3f1, v5
	v_or_b32_e32 v3, 0x1000, v4
	v_med3_i32 v6, v6, 0, 13
	v_lshrrev_b32_e32 v10, v6, v3
	v_lshlrev_b32_e32 v6, v6, v10
	v_cmp_ne_u32_e32 vcc, v6, v3
	v_add_u32_e32 v5, 0xfffffc10, v5
	v_lshl_or_b32 v6, v5, 12, v4
	v_cndmask_b32_e64 v3, 0, 1, vcc
	v_or_b32_e32 v3, v10, v3
	v_cmp_gt_i32_e32 vcc, 1, v5
	v_cvt_f32_f16_e32 v2, v2
	v_and_b32_sdwa v13, v11, s6 dst_sel:DWORD dst_unused:UNUSED_PAD src0_sel:WORD_1 src1_sel:DWORD
	v_cndmask_b32_e32 v3, v6, v3, vcc
	v_and_b32_e32 v6, 7, v3
	v_cmp_lt_i32_e32 vcc, 5, v6
	v_cmp_eq_u32_e64 s[0:1], 3, v6
	v_lshrrev_b32_e32 v3, 2, v3
	s_or_b64 vcc, s[0:1], vcc
	v_addc_co_u32_e32 v6, vcc, 0, v3, vcc
	v_mov_b32_e32 v3, 0x7c00
	v_cmp_gt_i32_e32 vcc, 31, v5
	v_lshl_add_u64 v[0:1], v[180:181], 2, v[0:1]
	s_nop 0
	v_cndmask_b32_e32 v6, v3, v6, vcc
	v_cmp_ne_u32_e32 vcc, 0, v4
	s_nop 1
	v_cndmask_b32_e64 v4, 0, 1, vcc
	v_lshl_or_b32 v4, v4, 9, v3
	v_cmp_eq_u32_e32 vcc, s10, v5
	s_nop 1
	v_cndmask_b32_e32 v12, v6, v4, vcc
	v_cvt_f64_f32_e32 v[6:7], v2
	v_mul_f64 v[6:7], v[6:7], s[2:3]
	v_and_or_b32 v2, v7, s8, v6
	v_cmp_ne_u32_e32 vcc, 0, v2
	v_lshrrev_b32_e32 v4, 8, v7
	v_bfe_u32 v5, v7, 20, 11
	v_cndmask_b32_e64 v2, 0, 1, vcc
	v_and_or_b32 v2, v4, s9, v2
	v_sub_u32_e32 v6, 0x3f1, v5
	v_or_b32_e32 v4, 0x1000, v2
	v_med3_i32 v6, v6, 0, 13
	v_lshrrev_b32_e32 v8, v6, v4
	v_lshlrev_b32_e32 v6, v6, v8
	v_cmp_ne_u32_e32 vcc, v6, v4
	v_add_u32_e32 v5, 0xfffffc10, v5
	v_lshl_or_b32 v6, v5, 12, v2
	v_cndmask_b32_e64 v4, 0, 1, vcc
	v_or_b32_e32 v4, v8, v4
	v_cmp_gt_i32_e32 vcc, 1, v5
	s_nop 1
	v_cndmask_b32_e32 v4, v6, v4, vcc
	v_and_b32_e32 v6, 7, v4
	v_cmp_lt_i32_e32 vcc, 5, v6
	v_cmp_eq_u32_e64 s[0:1], 3, v6
	v_lshrrev_b32_e32 v4, 2, v4
	s_or_b64 vcc, s[0:1], vcc
	v_addc_co_u32_e32 v4, vcc, 0, v4, vcc
	v_cmp_gt_i32_e32 vcc, 31, v5
	v_mad_u64_u32 v[10:11], s[0:1], s4, v140, 0
	s_nop 0
	v_cndmask_b32_e32 v4, v3, v4, vcc
	v_cmp_ne_u32_e32 vcc, 0, v2
	v_mov_b32_e32 v8, v11
	s_nop 0
	v_cndmask_b32_e64 v2, 0, 1, vcc
	v_lshl_or_b32 v2, v2, 9, v3
	v_cmp_eq_u32_e32 vcc, s10, v5
	s_nop 1
	v_cndmask_b32_e32 v2, v4, v2, vcc
	v_lshrrev_b32_e32 v4, 16, v7
	ds_read2_b32 v[6:7], v179 offset0:8 offset1:251
	v_and_or_b32 v2, v4, s6, v2
	v_mad_u64_u32 v[4:5], s[0:1], s5, v140, v[8:9]
	v_mov_b32_e32 v11, v4
	v_bitop3_b32 v4, v13, s7, v12 bitop3:0xc8
	s_waitcnt lgkmcnt(0)
	v_lshrrev_b32_e32 v8, 16, v7
	v_lshl_or_b32 v2, v2, 16, v4
	v_mul_f16_sdwa v4, v174, v8 dst_sel:DWORD dst_unused:UNUSED_PAD src0_sel:WORD_1 src1_sel:DWORD
	v_fma_f16 v4, v174, v7, v4
	v_cvt_f32_f16_e32 v12, v4
	v_lshl_add_u64 v[4:5], v[10:11], 2, v[0:1]
	global_store_dword v[4:5], v2, off
	v_mul_f16_sdwa v7, v174, v7 dst_sel:DWORD dst_unused:UNUSED_PAD src0_sel:WORD_1 src1_sel:DWORD
	v_cvt_f64_f32_e32 v[0:1], v12
	v_mul_f64 v[0:1], v[0:1], s[2:3]
	v_and_or_b32 v0, v1, s8, v0
	v_cmp_ne_u32_e32 vcc, 0, v0
	v_lshrrev_b32_e32 v2, 8, v1
	v_bfe_u32 v10, v1, 20, 11
	v_cndmask_b32_e64 v0, 0, 1, vcc
	v_and_or_b32 v0, v2, s9, v0
	v_sub_u32_e32 v11, 0x3f1, v10
	v_or_b32_e32 v2, 0x1000, v0
	v_med3_i32 v11, v11, 0, 13
	v_lshrrev_b32_e32 v12, v11, v2
	v_lshlrev_b32_e32 v11, v11, v12
	v_cmp_ne_u32_e32 vcc, v11, v2
	v_add_u32_e32 v10, 0xfffffc10, v10
	v_lshl_or_b32 v11, v10, 12, v0
	v_cndmask_b32_e64 v2, 0, 1, vcc
	v_or_b32_e32 v2, v12, v2
	v_cmp_gt_i32_e32 vcc, 1, v10
	v_fma_f16 v7, v174, v8, -v7
	v_cvt_f32_f16_e32 v7, v7
	v_cndmask_b32_e32 v2, v11, v2, vcc
	v_and_b32_e32 v11, 7, v2
	v_cmp_lt_i32_e32 vcc, 5, v11
	v_cmp_eq_u32_e64 s[0:1], 3, v11
	v_lshrrev_b32_e32 v2, 2, v2
	s_or_b64 vcc, s[0:1], vcc
	v_addc_co_u32_e32 v2, vcc, 0, v2, vcc
	v_cmp_gt_i32_e32 vcc, 31, v10
	v_and_b32_sdwa v8, v1, s6 dst_sel:DWORD dst_unused:UNUSED_PAD src0_sel:WORD_1 src1_sel:DWORD
	s_nop 0
	v_cndmask_b32_e32 v2, v3, v2, vcc
	v_cmp_ne_u32_e32 vcc, 0, v0
	s_nop 1
	v_cndmask_b32_e64 v0, 0, 1, vcc
	v_lshl_or_b32 v0, v0, 9, v3
	v_cmp_eq_u32_e32 vcc, s10, v10
	s_nop 1
	v_cndmask_b32_e32 v2, v2, v0, vcc
	v_cvt_f64_f32_e32 v[0:1], v7
	v_mul_f64 v[0:1], v[0:1], s[2:3]
	v_and_or_b32 v0, v1, s8, v0
	v_cmp_ne_u32_e32 vcc, 0, v0
	v_lshrrev_b32_e32 v7, 8, v1
	v_bfe_u32 v10, v1, 20, 11
	v_cndmask_b32_e64 v0, 0, 1, vcc
	v_and_or_b32 v0, v7, s9, v0
	v_sub_u32_e32 v11, 0x3f1, v10
	v_or_b32_e32 v7, 0x1000, v0
	v_med3_i32 v11, v11, 0, 13
	v_lshrrev_b32_e32 v12, v11, v7
	v_lshlrev_b32_e32 v11, v11, v12
	v_cmp_ne_u32_e32 vcc, v11, v7
	v_add_u32_e32 v10, 0xfffffc10, v10
	v_lshl_or_b32 v11, v10, 12, v0
	v_cndmask_b32_e64 v7, 0, 1, vcc
	v_or_b32_e32 v7, v12, v7
	v_cmp_gt_i32_e32 vcc, 1, v10
	v_lshrrev_b32_e32 v1, 16, v1
	v_bitop3_b32 v2, v8, s7, v2 bitop3:0xc8
	v_cndmask_b32_e32 v7, v11, v7, vcc
	v_and_b32_e32 v11, 7, v7
	v_cmp_lt_i32_e32 vcc, 5, v11
	v_cmp_eq_u32_e64 s[0:1], 3, v11
	v_lshrrev_b32_e32 v7, 2, v7
	s_or_b64 vcc, s[0:1], vcc
	v_addc_co_u32_e32 v7, vcc, 0, v7, vcc
	v_cmp_gt_i32_e32 vcc, 31, v10
	v_mad_u64_u32 v[4:5], s[0:1], s4, v182, v[4:5]
	s_nop 0
	v_cndmask_b32_e32 v7, v3, v7, vcc
	v_cmp_ne_u32_e32 vcc, 0, v0
	v_add_u32_e32 v5, s11, v5
	s_nop 0
	v_cndmask_b32_e64 v0, 0, 1, vcc
	v_lshl_or_b32 v0, v0, 9, v3
	v_cmp_eq_u32_e32 vcc, s10, v10
	s_nop 1
	v_cndmask_b32_e32 v0, v7, v0, vcc
	v_and_or_b32 v7, v1, s6, v0
	ds_read2_b32 v[0:1], v178 offset0:6 offset1:249
	v_lshl_or_b32 v2, v7, 16, v2
	global_store_dword v[4:5], v2, off
	s_waitcnt lgkmcnt(0)
	v_lshrrev_b32_e32 v7, 16, v0
	v_mul_f16_sdwa v8, v173, v7 dst_sel:DWORD dst_unused:UNUSED_PAD src0_sel:WORD_1 src1_sel:DWORD
	v_fma_f16 v8, v173, v0, v8
	v_cvt_f32_f16_e32 v8, v8
	v_mul_f16_sdwa v0, v173, v0 dst_sel:DWORD dst_unused:UNUSED_PAD src0_sel:WORD_1 src1_sel:DWORD
	v_fma_f16 v0, v173, v7, -v0
	v_cvt_f32_f16_e32 v0, v0
	v_cvt_f64_f32_e32 v[10:11], v8
	v_mul_f64 v[10:11], v[10:11], s[2:3]
	v_and_or_b32 v2, v11, s8, v10
	v_cmp_ne_u32_e32 vcc, 0, v2
	v_lshrrev_b32_e32 v8, 8, v11
	v_bfe_u32 v10, v11, 20, 11
	v_cndmask_b32_e64 v2, 0, 1, vcc
	v_and_or_b32 v2, v8, s9, v2
	v_sub_u32_e32 v12, 0x3f1, v10
	v_or_b32_e32 v8, 0x1000, v2
	v_med3_i32 v12, v12, 0, 13
	v_lshrrev_b32_e32 v13, v12, v8
	v_lshlrev_b32_e32 v12, v12, v13
	v_cmp_ne_u32_e32 vcc, v12, v8
	v_add_u32_e32 v10, 0xfffffc10, v10
	v_lshl_or_b32 v12, v10, 12, v2
	v_cndmask_b32_e64 v8, 0, 1, vcc
	v_or_b32_e32 v8, v13, v8
	v_cmp_gt_i32_e32 vcc, 1, v10
	v_and_b32_sdwa v7, v11, s6 dst_sel:DWORD dst_unused:UNUSED_PAD src0_sel:WORD_1 src1_sel:DWORD
	s_nop 0
	v_cndmask_b32_e32 v8, v12, v8, vcc
	v_and_b32_e32 v12, 7, v8
	v_cmp_lt_i32_e32 vcc, 5, v12
	v_cmp_eq_u32_e64 s[0:1], 3, v12
	v_lshrrev_b32_e32 v8, 2, v8
	s_or_b64 vcc, s[0:1], vcc
	v_addc_co_u32_e32 v8, vcc, 0, v8, vcc
	v_cmp_gt_i32_e32 vcc, 31, v10
	s_nop 1
	v_cndmask_b32_e32 v8, v3, v8, vcc
	v_cmp_ne_u32_e32 vcc, 0, v2
	s_nop 1
	v_cndmask_b32_e64 v2, 0, 1, vcc
	v_cmp_eq_u32_e32 vcc, s10, v10
	v_cvt_f64_f32_e32 v[10:11], v0
	v_mul_f64 v[10:11], v[10:11], s[2:3]
	v_lshl_or_b32 v2, v2, 9, v3
	v_and_or_b32 v0, v11, s8, v10
	v_cndmask_b32_e32 v2, v8, v2, vcc
	v_cmp_ne_u32_e32 vcc, 0, v0
	v_lshrrev_b32_e32 v8, 8, v11
	v_bfe_u32 v10, v11, 20, 11
	v_cndmask_b32_e64 v0, 0, 1, vcc
	v_and_or_b32 v0, v8, s9, v0
	v_sub_u32_e32 v12, 0x3f1, v10
	v_or_b32_e32 v8, 0x1000, v0
	v_med3_i32 v12, v12, 0, 13
	v_lshrrev_b32_e32 v13, v12, v8
	v_lshlrev_b32_e32 v12, v12, v13
	v_cmp_ne_u32_e32 vcc, v12, v8
	v_add_u32_e32 v10, 0xfffffc10, v10
	v_lshl_or_b32 v12, v10, 12, v0
	v_cndmask_b32_e64 v8, 0, 1, vcc
	v_or_b32_e32 v8, v13, v8
	v_cmp_gt_i32_e32 vcc, 1, v10
	v_bitop3_b32 v2, v7, s7, v2 bitop3:0xc8
	s_nop 0
	v_cndmask_b32_e32 v8, v12, v8, vcc
	v_and_b32_e32 v12, 7, v8
	v_cmp_lt_i32_e32 vcc, 5, v12
	v_cmp_eq_u32_e64 s[0:1], 3, v12
	v_lshrrev_b32_e32 v8, 2, v8
	s_or_b64 vcc, s[0:1], vcc
	v_addc_co_u32_e32 v8, vcc, 0, v8, vcc
	v_cmp_gt_i32_e32 vcc, 31, v10
	s_nop 1
	v_cndmask_b32_e32 v8, v3, v8, vcc
	v_cmp_ne_u32_e32 vcc, 0, v0
	s_nop 1
	v_cndmask_b32_e64 v0, 0, 1, vcc
	v_lshl_or_b32 v0, v0, 9, v3
	v_cmp_eq_u32_e32 vcc, s10, v10
	s_nop 1
	v_cndmask_b32_e32 v0, v8, v0, vcc
	v_lshrrev_b32_e32 v8, 16, v11
	v_and_or_b32 v0, v8, s6, v0
	v_lshl_or_b32 v0, v0, 16, v2
	v_lshrrev_b32_e32 v2, 16, v9
	v_mul_f16_sdwa v7, v172, v2 dst_sel:DWORD dst_unused:UNUSED_PAD src0_sel:WORD_1 src1_sel:DWORD
	v_fma_f16 v7, v172, v9, v7
	v_cvt_f32_f16_e32 v7, v7
	v_mad_u64_u32 v[10:11], s[0:1], s4, v182, v[4:5]
	v_add_u32_e32 v11, s11, v11
	v_cvt_f64_f32_e32 v[4:5], v7
	v_mul_f64 v[4:5], v[4:5], s[2:3]
	global_store_dword v[10:11], v0, off
	v_and_or_b32 v0, v5, s8, v4
	v_cmp_ne_u32_e32 vcc, 0, v0
	v_lshrrev_b32_e32 v4, 8, v5
	v_bfe_u32 v7, v5, 20, 11
	v_cndmask_b32_e64 v0, 0, 1, vcc
	v_and_or_b32 v0, v4, s9, v0
	v_sub_u32_e32 v8, 0x3f1, v7
	v_or_b32_e32 v4, 0x1000, v0
	v_med3_i32 v8, v8, 0, 13
	v_lshrrev_b32_e32 v12, v8, v4
	v_lshlrev_b32_e32 v8, v8, v12
	v_cmp_ne_u32_e32 vcc, v8, v4
	v_add_u32_e32 v7, 0xfffffc10, v7
	v_lshl_or_b32 v8, v7, 12, v0
	v_cndmask_b32_e64 v4, 0, 1, vcc
	v_or_b32_e32 v4, v12, v4
	v_cmp_gt_i32_e32 vcc, 1, v7
	s_nop 1
	v_cndmask_b32_e32 v4, v8, v4, vcc
	v_and_b32_e32 v8, 7, v4
	v_cmp_lt_i32_e32 vcc, 5, v8
	v_cmp_eq_u32_e64 s[0:1], 3, v8
	v_lshrrev_b32_e32 v4, 2, v4
	s_or_b64 vcc, s[0:1], vcc
	v_mul_f16_sdwa v8, v172, v9 dst_sel:DWORD dst_unused:UNUSED_PAD src0_sel:WORD_1 src1_sel:DWORD
	v_addc_co_u32_e32 v4, vcc, 0, v4, vcc
	v_fma_f16 v2, v172, v2, -v8
	v_cmp_gt_i32_e32 vcc, 31, v7
	v_cvt_f32_f16_e32 v2, v2
	s_nop 0
	v_cndmask_b32_e32 v4, v3, v4, vcc
	v_cmp_ne_u32_e32 vcc, 0, v0
	s_nop 1
	v_cndmask_b32_e64 v0, 0, 1, vcc
	v_lshl_or_b32 v0, v0, 9, v3
	v_cmp_eq_u32_e32 vcc, s10, v7
	v_and_b32_sdwa v7, v5, s6 dst_sel:DWORD dst_unused:UNUSED_PAD src0_sel:WORD_1 src1_sel:DWORD
	s_nop 0
	v_cndmask_b32_e32 v0, v4, v0, vcc
	v_cvt_f64_f32_e32 v[4:5], v2
	v_mul_f64 v[4:5], v[4:5], s[2:3]
	v_and_or_b32 v2, v5, s8, v4
	v_cmp_ne_u32_e32 vcc, 0, v2
	v_lshrrev_b32_e32 v4, 8, v5
	v_bfe_u32 v8, v5, 20, 11
	v_cndmask_b32_e64 v2, 0, 1, vcc
	v_and_or_b32 v2, v4, s9, v2
	v_sub_u32_e32 v9, 0x3f1, v8
	v_or_b32_e32 v4, 0x1000, v2
	v_med3_i32 v9, v9, 0, 13
	v_lshrrev_b32_e32 v12, v9, v4
	v_lshlrev_b32_e32 v9, v9, v12
	v_cmp_ne_u32_e32 vcc, v9, v4
	v_add_u32_e32 v8, 0xfffffc10, v8
	v_lshl_or_b32 v9, v8, 12, v2
	v_cndmask_b32_e64 v4, 0, 1, vcc
	v_or_b32_e32 v4, v12, v4
	v_cmp_gt_i32_e32 vcc, 1, v8
	v_bitop3_b32 v0, v7, s7, v0 bitop3:0xc8
	s_nop 0
	v_cndmask_b32_e32 v4, v9, v4, vcc
	v_and_b32_e32 v9, 7, v4
	v_cmp_lt_i32_e32 vcc, 5, v9
	v_cmp_eq_u32_e64 s[0:1], 3, v9
	v_lshrrev_b32_e32 v4, 2, v4
	s_or_b64 vcc, s[0:1], vcc
	v_addc_co_u32_e32 v4, vcc, 0, v4, vcc
	v_cmp_gt_i32_e32 vcc, 31, v8
	s_nop 1
	v_cndmask_b32_e32 v4, v3, v4, vcc
	v_cmp_ne_u32_e32 vcc, 0, v2
	s_nop 1
	v_cndmask_b32_e64 v2, 0, 1, vcc
	v_lshl_or_b32 v2, v2, 9, v3
	v_cmp_eq_u32_e32 vcc, s10, v8
	v_mad_u64_u32 v[8:9], s[0:1], s4, v235, v[10:11]
	s_nop 0
	v_cndmask_b32_e32 v2, v4, v2, vcc
	v_lshrrev_b32_e32 v4, 16, v5
	v_and_or_b32 v2, v4, s6, v2
	ds_read2_b32 v[4:5], v177 offset0:6 offset1:249
	v_lshl_or_b32 v0, v2, 16, v0
	s_mul_i32 s0, s5, 0xffffbf74
	s_sub_i32 s5, s0, s4
	v_add_u32_e32 v9, s5, v9
	s_waitcnt lgkmcnt(0)
	v_lshrrev_b32_e32 v2, 16, v4
	v_mul_f16_sdwa v7, v171, v2 dst_sel:DWORD dst_unused:UNUSED_PAD src0_sel:WORD_1 src1_sel:DWORD
	v_fma_f16 v7, v171, v4, v7
	v_cvt_f32_f16_e32 v7, v7
	global_store_dword v[8:9], v0, off
	v_mul_f16_sdwa v4, v171, v4 dst_sel:DWORD dst_unused:UNUSED_PAD src0_sel:WORD_1 src1_sel:DWORD
	v_fma_f16 v2, v171, v2, -v4
	v_cvt_f64_f32_e32 v[10:11], v7
	v_mul_f64 v[10:11], v[10:11], s[2:3]
	v_and_or_b32 v0, v11, s8, v10
	v_cmp_ne_u32_e32 vcc, 0, v0
	v_lshrrev_b32_e32 v7, 8, v11
	v_bfe_u32 v10, v11, 20, 11
	v_cndmask_b32_e64 v0, 0, 1, vcc
	v_and_or_b32 v0, v7, s9, v0
	v_sub_u32_e32 v12, 0x3f1, v10
	v_or_b32_e32 v7, 0x1000, v0
	v_med3_i32 v12, v12, 0, 13
	v_lshrrev_b32_e32 v13, v12, v7
	v_lshlrev_b32_e32 v12, v12, v13
	v_cmp_ne_u32_e32 vcc, v12, v7
	v_add_u32_e32 v10, 0xfffffc10, v10
	v_lshl_or_b32 v12, v10, 12, v0
	v_cndmask_b32_e64 v7, 0, 1, vcc
	v_or_b32_e32 v7, v13, v7
	v_cmp_gt_i32_e32 vcc, 1, v10
	v_cvt_f32_f16_e32 v2, v2
	v_and_b32_sdwa v4, v11, s6 dst_sel:DWORD dst_unused:UNUSED_PAD src0_sel:WORD_1 src1_sel:DWORD
	v_cndmask_b32_e32 v7, v12, v7, vcc
	v_and_b32_e32 v12, 7, v7
	v_cmp_lt_i32_e32 vcc, 5, v12
	v_cmp_eq_u32_e64 s[0:1], 3, v12
	v_lshrrev_b32_e32 v7, 2, v7
	s_or_b64 vcc, s[0:1], vcc
	v_addc_co_u32_e32 v7, vcc, 0, v7, vcc
	v_cmp_gt_i32_e32 vcc, 31, v10
	s_nop 1
	v_cndmask_b32_e32 v7, v3, v7, vcc
	v_cmp_ne_u32_e32 vcc, 0, v0
	s_nop 1
	v_cndmask_b32_e64 v0, 0, 1, vcc
	v_cmp_eq_u32_e32 vcc, s10, v10
	v_cvt_f64_f32_e32 v[10:11], v2
	v_mul_f64 v[10:11], v[10:11], s[2:3]
	v_lshl_or_b32 v0, v0, 9, v3
	v_and_or_b32 v2, v11, s8, v10
	v_cndmask_b32_e32 v0, v7, v0, vcc
	v_cmp_ne_u32_e32 vcc, 0, v2
	v_lshrrev_b32_e32 v7, 8, v11
	v_bfe_u32 v10, v11, 20, 11
	v_cndmask_b32_e64 v2, 0, 1, vcc
	v_and_or_b32 v2, v7, s9, v2
	v_sub_u32_e32 v12, 0x3f1, v10
	v_or_b32_e32 v7, 0x1000, v2
	v_med3_i32 v12, v12, 0, 13
	v_lshrrev_b32_e32 v13, v12, v7
	v_lshlrev_b32_e32 v12, v12, v13
	v_cmp_ne_u32_e32 vcc, v12, v7
	v_add_u32_e32 v10, 0xfffffc10, v10
	v_lshl_or_b32 v12, v10, 12, v2
	v_cndmask_b32_e64 v7, 0, 1, vcc
	v_or_b32_e32 v7, v13, v7
	v_cmp_gt_i32_e32 vcc, 1, v10
	v_bitop3_b32 v0, v4, s7, v0 bitop3:0xc8
	s_nop 0
	v_cndmask_b32_e32 v7, v12, v7, vcc
	v_and_b32_e32 v12, 7, v7
	v_cmp_lt_i32_e32 vcc, 5, v12
	v_cmp_eq_u32_e64 s[0:1], 3, v12
	v_lshrrev_b32_e32 v7, 2, v7
	s_or_b64 vcc, s[0:1], vcc
	v_addc_co_u32_e32 v7, vcc, 0, v7, vcc
	v_cmp_gt_i32_e32 vcc, 31, v10
	v_mad_u64_u32 v[8:9], s[0:1], s4, v182, v[8:9]
	s_nop 0
	v_cndmask_b32_e32 v7, v3, v7, vcc
	v_cmp_ne_u32_e32 vcc, 0, v2
	v_add_u32_e32 v9, s11, v9
	s_nop 0
	v_cndmask_b32_e64 v2, 0, 1, vcc
	v_lshl_or_b32 v2, v2, 9, v3
	v_cmp_eq_u32_e32 vcc, s10, v10
	s_nop 1
	v_cndmask_b32_e32 v2, v7, v2, vcc
	v_lshrrev_b32_e32 v7, 16, v11
	v_and_or_b32 v2, v7, s6, v2
	v_lshl_or_b32 v0, v2, 16, v0
	v_lshrrev_b32_e32 v2, 16, v1
	v_mul_f16_sdwa v4, v169, v2 dst_sel:DWORD dst_unused:UNUSED_PAD src0_sel:WORD_1 src1_sel:DWORD
	v_fma_f16 v4, v169, v1, v4
	v_cvt_f32_f16_e32 v4, v4
	global_store_dword v[8:9], v0, off
	v_mul_f16_sdwa v1, v169, v1 dst_sel:DWORD dst_unused:UNUSED_PAD src0_sel:WORD_1 src1_sel:DWORD
	v_fma_f16 v1, v169, v2, -v1
	v_cvt_f64_f32_e32 v[10:11], v4
	v_mul_f64 v[10:11], v[10:11], s[2:3]
	v_and_or_b32 v0, v11, s8, v10
	v_cmp_ne_u32_e32 vcc, 0, v0
	v_lshrrev_b32_e32 v4, 8, v11
	v_bfe_u32 v7, v11, 20, 11
	v_cndmask_b32_e64 v0, 0, 1, vcc
	v_and_or_b32 v0, v4, s9, v0
	v_sub_u32_e32 v10, 0x3f1, v7
	v_or_b32_e32 v4, 0x1000, v0
	v_med3_i32 v10, v10, 0, 13
	v_lshrrev_b32_e32 v12, v10, v4
	v_lshlrev_b32_e32 v10, v10, v12
	v_cmp_ne_u32_e32 vcc, v10, v4
	v_add_u32_e32 v7, 0xfffffc10, v7
	v_lshl_or_b32 v10, v7, 12, v0
	v_cndmask_b32_e64 v4, 0, 1, vcc
	v_or_b32_e32 v4, v12, v4
	v_cmp_gt_i32_e32 vcc, 1, v7
	v_cvt_f32_f16_e32 v1, v1
	s_nop 0
	v_cndmask_b32_e32 v4, v10, v4, vcc
	v_and_b32_e32 v10, 7, v4
	v_cmp_lt_i32_e32 vcc, 5, v10
	v_cmp_eq_u32_e64 s[0:1], 3, v10
	v_lshrrev_b32_e32 v4, 2, v4
	s_or_b64 vcc, s[0:1], vcc
	v_addc_co_u32_e32 v4, vcc, 0, v4, vcc
	v_cmp_gt_i32_e32 vcc, 31, v7
	s_nop 1
	v_cndmask_b32_e32 v4, v3, v4, vcc
	v_cmp_ne_u32_e32 vcc, 0, v0
	s_nop 1
	v_cndmask_b32_e64 v0, 0, 1, vcc
	v_lshl_or_b32 v0, v0, 9, v3
	v_cmp_eq_u32_e32 vcc, s10, v7
	s_nop 1
	v_cndmask_b32_e32 v2, v4, v0, vcc
	v_cvt_f64_f32_e32 v[0:1], v1
	v_and_b32_sdwa v4, v11, s6 dst_sel:DWORD dst_unused:UNUSED_PAD src0_sel:WORD_1 src1_sel:DWORD
	v_mul_f64 v[10:11], v[0:1], s[2:3]
	v_and_or_b32 v0, v11, s8, v10
	v_cmp_ne_u32_e32 vcc, 0, v0
	v_lshrrev_b32_e32 v1, 8, v11
	v_bfe_u32 v7, v11, 20, 11
	v_cndmask_b32_e64 v0, 0, 1, vcc
	v_and_or_b32 v0, v1, s9, v0
	v_sub_u32_e32 v10, 0x3f1, v7
	v_or_b32_e32 v1, 0x1000, v0
	v_med3_i32 v10, v10, 0, 13
	v_lshrrev_b32_e32 v12, v10, v1
	v_lshlrev_b32_e32 v10, v10, v12
	v_cmp_ne_u32_e32 vcc, v10, v1
	v_add_u32_e32 v7, 0xfffffc10, v7
	v_lshl_or_b32 v10, v7, 12, v0
	v_cndmask_b32_e64 v1, 0, 1, vcc
	v_or_b32_e32 v1, v12, v1
	v_cmp_gt_i32_e32 vcc, 1, v7
	v_bitop3_b32 v2, v4, s7, v2 bitop3:0xc8
	s_nop 0
	v_cndmask_b32_e32 v1, v10, v1, vcc
	v_and_b32_e32 v10, 7, v1
	v_cmp_lt_i32_e32 vcc, 5, v10
	v_cmp_eq_u32_e64 s[0:1], 3, v10
	v_lshrrev_b32_e32 v1, 2, v1
	s_or_b64 vcc, s[0:1], vcc
	v_addc_co_u32_e32 v1, vcc, 0, v1, vcc
	v_cmp_gt_i32_e32 vcc, 31, v7
	v_lshrrev_b32_e32 v10, 16, v11
	v_mad_u64_u32 v[8:9], s[0:1], s4, v182, v[8:9]
	v_cndmask_b32_e32 v1, v3, v1, vcc
	v_cmp_ne_u32_e32 vcc, 0, v0
	v_add_u32_e32 v9, s11, v9
	s_nop 0
	v_cndmask_b32_e64 v0, 0, 1, vcc
	v_lshl_or_b32 v0, v0, 9, v3
	v_cmp_eq_u32_e32 vcc, s10, v7
	s_nop 1
	v_cndmask_b32_e32 v7, v1, v0, vcc
	ds_read2_b32 v[0:1], v175 offset0:6 offset1:249
	v_and_or_b32 v7, v10, s6, v7
	v_lshl_or_b32 v2, v7, 16, v2
	global_store_dword v[8:9], v2, off
	s_waitcnt lgkmcnt(0)
	v_lshrrev_b32_e32 v4, 16, v0
	v_mul_f16_sdwa v7, v168, v4 dst_sel:DWORD dst_unused:UNUSED_PAD src0_sel:WORD_1 src1_sel:DWORD
	v_fma_f16 v7, v168, v0, v7
	v_cvt_f32_f16_e32 v7, v7
	v_mul_f16_sdwa v0, v168, v0 dst_sel:DWORD dst_unused:UNUSED_PAD src0_sel:WORD_1 src1_sel:DWORD
	v_fma_f16 v0, v168, v4, -v0
	v_cvt_f32_f16_e32 v0, v0
	v_cvt_f64_f32_e32 v[10:11], v7
	v_mul_f64 v[10:11], v[10:11], s[2:3]
	v_and_or_b32 v2, v11, s8, v10
	v_cmp_ne_u32_e32 vcc, 0, v2
	v_lshrrev_b32_e32 v7, 8, v11
	v_bfe_u32 v10, v11, 20, 11
	v_cndmask_b32_e64 v2, 0, 1, vcc
	v_and_or_b32 v2, v7, s9, v2
	v_sub_u32_e32 v12, 0x3f1, v10
	v_or_b32_e32 v7, 0x1000, v2
	v_med3_i32 v12, v12, 0, 13
	v_lshrrev_b32_e32 v13, v12, v7
	v_lshlrev_b32_e32 v12, v12, v13
	v_cmp_ne_u32_e32 vcc, v12, v7
	v_add_u32_e32 v10, 0xfffffc10, v10
	v_lshl_or_b32 v12, v10, 12, v2
	v_cndmask_b32_e64 v7, 0, 1, vcc
	v_or_b32_e32 v7, v13, v7
	v_cmp_gt_i32_e32 vcc, 1, v10
	v_and_b32_sdwa v4, v11, s6 dst_sel:DWORD dst_unused:UNUSED_PAD src0_sel:WORD_1 src1_sel:DWORD
	s_nop 0
	v_cndmask_b32_e32 v7, v12, v7, vcc
	v_and_b32_e32 v12, 7, v7
	v_cmp_lt_i32_e32 vcc, 5, v12
	v_cmp_eq_u32_e64 s[0:1], 3, v12
	v_lshrrev_b32_e32 v7, 2, v7
	s_or_b64 vcc, s[0:1], vcc
	v_addc_co_u32_e32 v7, vcc, 0, v7, vcc
	v_cmp_gt_i32_e32 vcc, 31, v10
	s_nop 1
	v_cndmask_b32_e32 v7, v3, v7, vcc
	v_cmp_ne_u32_e32 vcc, 0, v2
	s_nop 1
	v_cndmask_b32_e64 v2, 0, 1, vcc
	v_cmp_eq_u32_e32 vcc, s10, v10
	v_cvt_f64_f32_e32 v[10:11], v0
	v_mul_f64 v[10:11], v[10:11], s[2:3]
	v_lshl_or_b32 v2, v2, 9, v3
	v_and_or_b32 v0, v11, s8, v10
	v_cndmask_b32_e32 v2, v7, v2, vcc
	v_cmp_ne_u32_e32 vcc, 0, v0
	v_lshrrev_b32_e32 v7, 8, v11
	v_bfe_u32 v10, v11, 20, 11
	v_cndmask_b32_e64 v0, 0, 1, vcc
	v_and_or_b32 v0, v7, s9, v0
	v_sub_u32_e32 v12, 0x3f1, v10
	v_or_b32_e32 v7, 0x1000, v0
	v_med3_i32 v12, v12, 0, 13
	v_lshrrev_b32_e32 v13, v12, v7
	v_lshlrev_b32_e32 v12, v12, v13
	v_cmp_ne_u32_e32 vcc, v12, v7
	v_add_u32_e32 v10, 0xfffffc10, v10
	v_lshl_or_b32 v12, v10, 12, v0
	v_cndmask_b32_e64 v7, 0, 1, vcc
	v_or_b32_e32 v7, v13, v7
	v_cmp_gt_i32_e32 vcc, 1, v10
	v_bitop3_b32 v2, v4, s7, v2 bitop3:0xc8
	s_nop 0
	v_cndmask_b32_e32 v7, v12, v7, vcc
	v_and_b32_e32 v12, 7, v7
	v_cmp_lt_i32_e32 vcc, 5, v12
	v_cmp_eq_u32_e64 s[0:1], 3, v12
	v_lshrrev_b32_e32 v7, 2, v7
	s_or_b64 vcc, s[0:1], vcc
	v_addc_co_u32_e32 v7, vcc, 0, v7, vcc
	v_cmp_gt_i32_e32 vcc, 31, v10
	s_nop 1
	v_cndmask_b32_e32 v7, v3, v7, vcc
	v_cmp_ne_u32_e32 vcc, 0, v0
	s_nop 1
	v_cndmask_b32_e64 v0, 0, 1, vcc
	v_lshl_or_b32 v0, v0, 9, v3
	v_cmp_eq_u32_e32 vcc, s10, v10
	s_nop 1
	v_cndmask_b32_e32 v0, v7, v0, vcc
	v_lshrrev_b32_e32 v7, 16, v11
	v_and_or_b32 v0, v7, s6, v0
	v_lshl_or_b32 v0, v0, 16, v2
	v_lshrrev_b32_e32 v2, 16, v5
	v_mul_f16_sdwa v4, v166, v2 dst_sel:DWORD dst_unused:UNUSED_PAD src0_sel:WORD_1 src1_sel:DWORD
	v_fma_f16 v4, v166, v5, v4
	v_cvt_f32_f16_e32 v4, v4
	v_mad_u64_u32 v[10:11], s[0:1], s4, v235, v[8:9]
	v_add_u32_e32 v11, s5, v11
	v_cvt_f64_f32_e32 v[8:9], v4
	v_mul_f64 v[8:9], v[8:9], s[2:3]
	global_store_dword v[10:11], v0, off
	v_and_or_b32 v0, v9, s8, v8
	v_cmp_ne_u32_e32 vcc, 0, v0
	v_lshrrev_b32_e32 v4, 8, v9
	v_bfe_u32 v7, v9, 20, 11
	v_cndmask_b32_e64 v0, 0, 1, vcc
	v_and_or_b32 v0, v4, s9, v0
	v_sub_u32_e32 v8, 0x3f1, v7
	v_or_b32_e32 v4, 0x1000, v0
	v_med3_i32 v8, v8, 0, 13
	v_lshrrev_b32_e32 v12, v8, v4
	v_lshlrev_b32_e32 v8, v8, v12
	v_cmp_ne_u32_e32 vcc, v8, v4
	v_add_u32_e32 v7, 0xfffffc10, v7
	v_lshl_or_b32 v8, v7, 12, v0
	v_cndmask_b32_e64 v4, 0, 1, vcc
	v_or_b32_e32 v4, v12, v4
	v_cmp_gt_i32_e32 vcc, 1, v7
	v_mul_f16_sdwa v5, v166, v5 dst_sel:DWORD dst_unused:UNUSED_PAD src0_sel:WORD_1 src1_sel:DWORD
	v_fma_f16 v2, v166, v2, -v5
	v_cndmask_b32_e32 v4, v8, v4, vcc
	v_and_b32_e32 v8, 7, v4
	v_cmp_lt_i32_e32 vcc, 5, v8
	v_cmp_eq_u32_e64 s[0:1], 3, v8
	v_lshrrev_b32_e32 v4, 2, v4
	s_or_b64 vcc, s[0:1], vcc
	v_addc_co_u32_e32 v4, vcc, 0, v4, vcc
	v_cmp_gt_i32_e32 vcc, 31, v7
	v_cvt_f32_f16_e32 v2, v2
	s_nop 0
	v_cndmask_b32_e32 v4, v3, v4, vcc
	v_cmp_ne_u32_e32 vcc, 0, v0
	s_nop 1
	v_cndmask_b32_e64 v0, 0, 1, vcc
	v_lshl_or_b32 v0, v0, 9, v3
	v_cmp_eq_u32_e32 vcc, s10, v7
	v_and_b32_sdwa v7, v9, s6 dst_sel:DWORD dst_unused:UNUSED_PAD src0_sel:WORD_1 src1_sel:DWORD
	s_nop 0
	v_cndmask_b32_e32 v0, v4, v0, vcc
	v_cvt_f64_f32_e32 v[4:5], v2
	v_mul_f64 v[4:5], v[4:5], s[2:3]
	v_and_or_b32 v2, v5, s8, v4
	v_cmp_ne_u32_e32 vcc, 0, v2
	v_lshrrev_b32_e32 v4, 8, v5
	v_bfe_u32 v8, v5, 20, 11
	v_cndmask_b32_e64 v2, 0, 1, vcc
	v_and_or_b32 v2, v4, s9, v2
	v_sub_u32_e32 v9, 0x3f1, v8
	v_or_b32_e32 v4, 0x1000, v2
	v_med3_i32 v9, v9, 0, 13
	v_lshrrev_b32_e32 v12, v9, v4
	v_lshlrev_b32_e32 v9, v9, v12
	v_cmp_ne_u32_e32 vcc, v9, v4
	v_add_u32_e32 v8, 0xfffffc10, v8
	v_lshl_or_b32 v9, v8, 12, v2
	v_cndmask_b32_e64 v4, 0, 1, vcc
	v_or_b32_e32 v4, v12, v4
	v_cmp_gt_i32_e32 vcc, 1, v8
	v_bitop3_b32 v0, v7, s7, v0 bitop3:0xc8
	s_nop 0
	v_cndmask_b32_e32 v4, v9, v4, vcc
	v_and_b32_e32 v9, 7, v4
	v_cmp_lt_i32_e32 vcc, 5, v9
	v_cmp_eq_u32_e64 s[0:1], 3, v9
	v_lshrrev_b32_e32 v4, 2, v4
	s_or_b64 vcc, s[0:1], vcc
	v_addc_co_u32_e32 v4, vcc, 0, v4, vcc
	v_cmp_gt_i32_e32 vcc, 31, v8
	s_nop 1
	v_cndmask_b32_e32 v4, v3, v4, vcc
	v_cmp_ne_u32_e32 vcc, 0, v2
	s_nop 1
	v_cndmask_b32_e64 v2, 0, 1, vcc
	v_cmp_eq_u32_e32 vcc, s10, v8
	ds_read2_b32 v[8:9], v176 offset0:12 offset1:255
	v_lshl_or_b32 v2, v2, 9, v3
	v_cndmask_b32_e32 v2, v4, v2, vcc
	v_lshrrev_b32_e32 v4, 16, v5
	v_and_or_b32 v2, v4, s6, v2
	v_lshl_or_b32 v0, v2, 16, v0
	s_waitcnt lgkmcnt(0)
	v_lshrrev_b32_e32 v2, 16, v8
	v_mul_f16_sdwa v4, v165, v2 dst_sel:DWORD dst_unused:UNUSED_PAD src0_sel:WORD_1 src1_sel:DWORD
	v_fma_f16 v4, v165, v8, v4
	v_cvt_f32_f16_e32 v7, v4
	v_mad_u64_u32 v[4:5], s[0:1], s4, v182, v[10:11]
	v_add_u32_e32 v5, s11, v5
	v_cvt_f64_f32_e32 v[10:11], v7
	v_mul_f64 v[10:11], v[10:11], s[2:3]
	global_store_dword v[4:5], v0, off
	v_and_or_b32 v0, v11, s8, v10
	v_cmp_ne_u32_e32 vcc, 0, v0
	v_lshrrev_b32_e32 v7, 8, v11
	v_bfe_u32 v10, v11, 20, 11
	v_cndmask_b32_e64 v0, 0, 1, vcc
	v_and_or_b32 v0, v7, s9, v0
	v_sub_u32_e32 v12, 0x3f1, v10
	v_or_b32_e32 v7, 0x1000, v0
	v_med3_i32 v12, v12, 0, 13
	v_lshrrev_b32_e32 v13, v12, v7
	v_lshlrev_b32_e32 v12, v12, v13
	v_cmp_ne_u32_e32 vcc, v12, v7
	v_add_u32_e32 v10, 0xfffffc10, v10
	v_lshl_or_b32 v12, v10, 12, v0
	v_cndmask_b32_e64 v7, 0, 1, vcc
	v_or_b32_e32 v7, v13, v7
	v_cmp_gt_i32_e32 vcc, 1, v10
	v_mul_f16_sdwa v8, v165, v8 dst_sel:DWORD dst_unused:UNUSED_PAD src0_sel:WORD_1 src1_sel:DWORD
	v_fma_f16 v2, v165, v2, -v8
	v_cndmask_b32_e32 v7, v12, v7, vcc
	v_and_b32_e32 v12, 7, v7
	v_cmp_lt_i32_e32 vcc, 5, v12
	v_cmp_eq_u32_e64 s[0:1], 3, v12
	v_lshrrev_b32_e32 v7, 2, v7
	s_or_b64 vcc, s[0:1], vcc
	v_addc_co_u32_e32 v7, vcc, 0, v7, vcc
	v_cmp_gt_i32_e32 vcc, 31, v10
	v_cvt_f32_f16_e32 v2, v2
	s_nop 0
	v_cndmask_b32_e32 v7, v3, v7, vcc
	v_cmp_ne_u32_e32 vcc, 0, v0
	s_nop 1
	v_cndmask_b32_e64 v0, 0, 1, vcc
	v_lshl_or_b32 v0, v0, 9, v3
	v_cmp_eq_u32_e32 vcc, s10, v10
	s_nop 1
	v_cndmask_b32_e32 v0, v7, v0, vcc
	v_and_b32_sdwa v7, v11, s6 dst_sel:DWORD dst_unused:UNUSED_PAD src0_sel:WORD_1 src1_sel:DWORD
	v_cvt_f64_f32_e32 v[10:11], v2
	v_mul_f64 v[10:11], v[10:11], s[2:3]
	v_and_or_b32 v2, v11, s8, v10
	v_cmp_ne_u32_e32 vcc, 0, v2
	v_lshrrev_b32_e32 v8, 8, v11
	v_bfe_u32 v10, v11, 20, 11
	v_cndmask_b32_e64 v2, 0, 1, vcc
	v_and_or_b32 v2, v8, s9, v2
	v_sub_u32_e32 v12, 0x3f1, v10
	v_or_b32_e32 v8, 0x1000, v2
	v_med3_i32 v12, v12, 0, 13
	v_lshrrev_b32_e32 v13, v12, v8
	v_lshlrev_b32_e32 v12, v12, v13
	v_cmp_ne_u32_e32 vcc, v12, v8
	v_add_u32_e32 v10, 0xfffffc10, v10
	v_lshl_or_b32 v12, v10, 12, v2
	v_cndmask_b32_e64 v8, 0, 1, vcc
	v_or_b32_e32 v8, v13, v8
	v_cmp_gt_i32_e32 vcc, 1, v10
	v_bitop3_b32 v0, v7, s7, v0 bitop3:0xc8
	s_nop 0
	v_cndmask_b32_e32 v8, v12, v8, vcc
	v_and_b32_e32 v12, 7, v8
	v_cmp_lt_i32_e32 vcc, 5, v12
	v_cmp_eq_u32_e64 s[0:1], 3, v12
	v_lshrrev_b32_e32 v8, 2, v8
	s_or_b64 vcc, s[0:1], vcc
	v_addc_co_u32_e32 v8, vcc, 0, v8, vcc
	v_cmp_gt_i32_e32 vcc, 31, v10
	s_nop 1
	v_cndmask_b32_e32 v8, v3, v8, vcc
	v_cmp_ne_u32_e32 vcc, 0, v2
	s_nop 1
	v_cndmask_b32_e64 v2, 0, 1, vcc
	v_lshl_or_b32 v2, v2, 9, v3
	v_cmp_eq_u32_e32 vcc, s10, v10
	s_nop 1
	v_cndmask_b32_e32 v2, v8, v2, vcc
	v_lshrrev_b32_e32 v8, 16, v11
	v_and_or_b32 v2, v8, s6, v2
	v_lshl_or_b32 v0, v2, 16, v0
	v_lshrrev_b32_e32 v2, 16, v1
	v_mul_f16_sdwa v7, v162, v2 dst_sel:DWORD dst_unused:UNUSED_PAD src0_sel:WORD_1 src1_sel:DWORD
	v_fma_f16 v7, v162, v1, v7
	v_cvt_f32_f16_e32 v7, v7
	v_mad_u64_u32 v[10:11], s[0:1], s4, v182, v[4:5]
	v_add_u32_e32 v11, s11, v11
	v_cvt_f64_f32_e32 v[4:5], v7
	v_mul_f64 v[4:5], v[4:5], s[2:3]
	global_store_dword v[10:11], v0, off
	v_and_or_b32 v0, v5, s8, v4
	v_cmp_ne_u32_e32 vcc, 0, v0
	v_lshrrev_b32_e32 v4, 8, v5
	v_bfe_u32 v7, v5, 20, 11
	v_cndmask_b32_e64 v0, 0, 1, vcc
	v_and_or_b32 v0, v4, s9, v0
	v_sub_u32_e32 v8, 0x3f1, v7
	v_or_b32_e32 v4, 0x1000, v0
	v_med3_i32 v8, v8, 0, 13
	v_lshrrev_b32_e32 v12, v8, v4
	v_lshlrev_b32_e32 v8, v8, v12
	v_cmp_ne_u32_e32 vcc, v8, v4
	v_add_u32_e32 v7, 0xfffffc10, v7
	v_lshl_or_b32 v8, v7, 12, v0
	v_cndmask_b32_e64 v4, 0, 1, vcc
	v_or_b32_e32 v4, v12, v4
	v_cmp_gt_i32_e32 vcc, 1, v7
	v_mul_f16_sdwa v1, v162, v1 dst_sel:DWORD dst_unused:UNUSED_PAD src0_sel:WORD_1 src1_sel:DWORD
	v_fma_f16 v1, v162, v2, -v1
	v_cndmask_b32_e32 v4, v8, v4, vcc
	v_and_b32_e32 v8, 7, v4
	v_cmp_lt_i32_e32 vcc, 5, v8
	v_cmp_eq_u32_e64 s[0:1], 3, v8
	v_lshrrev_b32_e32 v4, 2, v4
	s_or_b64 vcc, s[0:1], vcc
	v_addc_co_u32_e32 v4, vcc, 0, v4, vcc
	v_cmp_gt_i32_e32 vcc, 31, v7
	v_cvt_f32_f16_e32 v1, v1
	s_nop 0
	v_cndmask_b32_e32 v4, v3, v4, vcc
	v_cmp_ne_u32_e32 vcc, 0, v0
	s_nop 1
	v_cndmask_b32_e64 v0, 0, 1, vcc
	v_lshl_or_b32 v0, v0, 9, v3
	v_cmp_eq_u32_e32 vcc, s10, v7
	v_and_b32_sdwa v7, v5, s6 dst_sel:DWORD dst_unused:UNUSED_PAD src0_sel:WORD_1 src1_sel:DWORD
	s_nop 0
	v_cndmask_b32_e32 v2, v4, v0, vcc
	v_cvt_f64_f32_e32 v[0:1], v1
	v_mul_f64 v[0:1], v[0:1], s[2:3]
	v_and_or_b32 v0, v1, s8, v0
	v_cmp_ne_u32_e32 vcc, 0, v0
	v_lshrrev_b32_e32 v4, 8, v1
	v_bfe_u32 v5, v1, 20, 11
	v_cndmask_b32_e64 v0, 0, 1, vcc
	v_and_or_b32 v0, v4, s9, v0
	v_sub_u32_e32 v8, 0x3f1, v5
	v_or_b32_e32 v4, 0x1000, v0
	v_med3_i32 v8, v8, 0, 13
	v_lshrrev_b32_e32 v12, v8, v4
	v_lshlrev_b32_e32 v8, v8, v12
	v_cmp_ne_u32_e32 vcc, v8, v4
	v_add_u32_e32 v5, 0xfffffc10, v5
	v_lshl_or_b32 v8, v5, 12, v0
	v_cndmask_b32_e64 v4, 0, 1, vcc
	v_or_b32_e32 v4, v12, v4
	v_cmp_gt_i32_e32 vcc, 1, v5
	v_lshrrev_b32_e32 v1, 16, v1
	s_nop 0
	v_cndmask_b32_e32 v4, v8, v4, vcc
	v_and_b32_e32 v8, 7, v4
	v_cmp_lt_i32_e32 vcc, 5, v8
	v_cmp_eq_u32_e64 s[0:1], 3, v8
	v_lshrrev_b32_e32 v4, 2, v4
	s_or_b64 vcc, s[0:1], vcc
	v_addc_co_u32_e32 v4, vcc, 0, v4, vcc
	v_cmp_gt_i32_e32 vcc, 31, v5
	s_nop 1
	v_cndmask_b32_e32 v4, v3, v4, vcc
	v_cmp_ne_u32_e32 vcc, 0, v0
	s_nop 1
	v_cndmask_b32_e64 v0, 0, 1, vcc
	v_lshl_or_b32 v0, v0, 9, v3
	v_cmp_eq_u32_e32 vcc, s10, v5
	s_nop 1
	v_cndmask_b32_e32 v0, v4, v0, vcc
	ds_read2_b32 v[4:5], v170 offset0:4 offset1:247
	v_and_or_b32 v0, v1, s6, v0
	v_bitop3_b32 v1, v7, s7, v2 bitop3:0xc8
	v_lshl_or_b32 v2, v0, 16, v1
	s_waitcnt lgkmcnt(0)
	v_lshrrev_b32_e32 v7, 16, v4
	v_mul_f16_sdwa v0, v161, v7 dst_sel:DWORD dst_unused:UNUSED_PAD src0_sel:WORD_1 src1_sel:DWORD
	v_fma_f16 v0, v161, v4, v0
	v_cvt_f32_f16_e32 v8, v0
	v_mad_u64_u32 v[0:1], s[0:1], s4, v235, v[10:11]
	v_add_u32_e32 v1, s5, v1
	v_cvt_f64_f32_e32 v[10:11], v8
	v_mul_f64 v[10:11], v[10:11], s[2:3]
	global_store_dword v[0:1], v2, off
	v_and_or_b32 v2, v11, s8, v10
	v_cmp_ne_u32_e32 vcc, 0, v2
	v_lshrrev_b32_e32 v8, 8, v11
	v_bfe_u32 v10, v11, 20, 11
	v_cndmask_b32_e64 v2, 0, 1, vcc
	v_and_or_b32 v2, v8, s9, v2
	v_sub_u32_e32 v12, 0x3f1, v10
	v_or_b32_e32 v8, 0x1000, v2
	v_med3_i32 v12, v12, 0, 13
	v_lshrrev_b32_e32 v13, v12, v8
	v_lshlrev_b32_e32 v12, v12, v13
	v_cmp_ne_u32_e32 vcc, v12, v8
	v_add_u32_e32 v10, 0xfffffc10, v10
	v_lshl_or_b32 v12, v10, 12, v2
	v_cndmask_b32_e64 v8, 0, 1, vcc
	v_or_b32_e32 v8, v13, v8
	v_cmp_gt_i32_e32 vcc, 1, v10
	v_mul_f16_sdwa v4, v161, v4 dst_sel:DWORD dst_unused:UNUSED_PAD src0_sel:WORD_1 src1_sel:DWORD
	v_fma_f16 v4, v161, v7, -v4
	v_cndmask_b32_e32 v8, v12, v8, vcc
	v_and_b32_e32 v12, 7, v8
	v_cmp_lt_i32_e32 vcc, 5, v12
	v_cmp_eq_u32_e64 s[0:1], 3, v12
	v_lshrrev_b32_e32 v8, 2, v8
	s_or_b64 vcc, s[0:1], vcc
	v_cvt_f32_f16_e32 v4, v4
	v_addc_co_u32_e32 v8, vcc, 0, v8, vcc
	v_cmp_gt_i32_e32 vcc, 31, v10
	v_and_b32_sdwa v7, v11, s6 dst_sel:DWORD dst_unused:UNUSED_PAD src0_sel:WORD_1 src1_sel:DWORD
	s_nop 0
	v_cndmask_b32_e32 v8, v3, v8, vcc
	v_cmp_ne_u32_e32 vcc, 0, v2
	s_nop 1
	v_cndmask_b32_e64 v2, 0, 1, vcc
	v_cmp_eq_u32_e32 vcc, s10, v10
	v_cvt_f64_f32_e32 v[10:11], v4
	v_mul_f64 v[10:11], v[10:11], s[2:3]
	v_lshl_or_b32 v2, v2, 9, v3
	v_and_or_b32 v4, v11, s8, v10
	v_cndmask_b32_e32 v2, v8, v2, vcc
	v_cmp_ne_u32_e32 vcc, 0, v4
	v_lshrrev_b32_e32 v8, 8, v11
	v_bfe_u32 v10, v11, 20, 11
	v_cndmask_b32_e64 v4, 0, 1, vcc
	v_and_or_b32 v4, v8, s9, v4
	v_sub_u32_e32 v12, 0x3f1, v10
	v_or_b32_e32 v8, 0x1000, v4
	v_med3_i32 v12, v12, 0, 13
	v_lshrrev_b32_e32 v13, v12, v8
	v_lshlrev_b32_e32 v12, v12, v13
	v_cmp_ne_u32_e32 vcc, v12, v8
	v_add_u32_e32 v10, 0xfffffc10, v10
	v_lshl_or_b32 v12, v10, 12, v4
	v_cndmask_b32_e64 v8, 0, 1, vcc
	v_or_b32_e32 v8, v13, v8
	v_cmp_gt_i32_e32 vcc, 1, v10
	v_bitop3_b32 v2, v7, s7, v2 bitop3:0xc8
	s_nop 0
	v_cndmask_b32_e32 v8, v12, v8, vcc
	v_and_b32_e32 v12, 7, v8
	v_cmp_lt_i32_e32 vcc, 5, v12
	v_cmp_eq_u32_e64 s[0:1], 3, v12
	v_lshrrev_b32_e32 v8, 2, v8
	s_or_b64 vcc, s[0:1], vcc
	v_addc_co_u32_e32 v8, vcc, 0, v8, vcc
	v_cmp_gt_i32_e32 vcc, 31, v10
	s_nop 1
	v_cndmask_b32_e32 v8, v3, v8, vcc
	v_cmp_ne_u32_e32 vcc, 0, v4
	s_nop 1
	v_cndmask_b32_e64 v4, 0, 1, vcc
	v_lshl_or_b32 v4, v4, 9, v3
	v_cmp_eq_u32_e32 vcc, s10, v10
	s_nop 1
	v_cndmask_b32_e32 v4, v8, v4, vcc
	v_lshrrev_b32_e32 v8, 16, v11
	v_and_or_b32 v4, v8, s6, v4
	v_lshl_or_b32 v2, v4, 16, v2
	v_lshrrev_b32_e32 v4, 16, v9
	v_mul_f16_sdwa v7, v163, v4 dst_sel:DWORD dst_unused:UNUSED_PAD src0_sel:WORD_1 src1_sel:DWORD
	v_fma_f16 v7, v163, v9, v7
	v_cvt_f32_f16_e32 v7, v7
	v_mad_u64_u32 v[10:11], s[0:1], s4, v182, v[0:1]
	v_add_u32_e32 v11, s11, v11
	v_cvt_f64_f32_e32 v[0:1], v7
	v_mul_f64 v[0:1], v[0:1], s[2:3]
	v_and_or_b32 v0, v1, s8, v0
	v_cmp_ne_u32_e32 vcc, 0, v0
	global_store_dword v[10:11], v2, off
	v_lshrrev_b32_e32 v2, 8, v1
	v_cndmask_b32_e64 v0, 0, 1, vcc
	v_bfe_u32 v7, v1, 20, 11
	v_and_or_b32 v0, v2, s9, v0
	v_sub_u32_e32 v8, 0x3f1, v7
	v_or_b32_e32 v2, 0x1000, v0
	v_med3_i32 v8, v8, 0, 13
	v_lshrrev_b32_e32 v12, v8, v2
	v_lshlrev_b32_e32 v8, v8, v12
	v_cmp_ne_u32_e32 vcc, v8, v2
	v_add_u32_e32 v7, 0xfffffc10, v7
	v_lshl_or_b32 v8, v7, 12, v0
	v_cndmask_b32_e64 v2, 0, 1, vcc
	v_or_b32_e32 v2, v12, v2
	v_cmp_gt_i32_e32 vcc, 1, v7
	s_nop 1
	v_cndmask_b32_e32 v2, v8, v2, vcc
	v_and_b32_e32 v8, 7, v2
	v_cmp_lt_i32_e32 vcc, 5, v8
	v_cmp_eq_u32_e64 s[0:1], 3, v8
	v_lshrrev_b32_e32 v2, 2, v2
	s_or_b64 vcc, s[0:1], vcc
	v_mul_f16_sdwa v8, v163, v9 dst_sel:DWORD dst_unused:UNUSED_PAD src0_sel:WORD_1 src1_sel:DWORD
	v_addc_co_u32_e32 v2, vcc, 0, v2, vcc
	v_fma_f16 v4, v163, v4, -v8
	v_cmp_gt_i32_e32 vcc, 31, v7
	v_cvt_f32_f16_e32 v4, v4
	s_nop 0
	v_cndmask_b32_e32 v2, v3, v2, vcc
	v_cmp_ne_u32_e32 vcc, 0, v0
	s_nop 1
	v_cndmask_b32_e64 v0, 0, 1, vcc
	v_lshl_or_b32 v0, v0, 9, v3
	v_cmp_eq_u32_e32 vcc, s10, v7
	v_and_b32_sdwa v7, v1, s6 dst_sel:DWORD dst_unused:UNUSED_PAD src0_sel:WORD_1 src1_sel:DWORD
	s_nop 0
	v_cndmask_b32_e32 v2, v2, v0, vcc
	v_cvt_f64_f32_e32 v[0:1], v4
	v_mul_f64 v[8:9], v[0:1], s[2:3]
	v_and_or_b32 v0, v9, s8, v8
	v_cmp_ne_u32_e32 vcc, 0, v0
	v_lshrrev_b32_e32 v1, 8, v9
	v_bfe_u32 v4, v9, 20, 11
	v_cndmask_b32_e64 v0, 0, 1, vcc
	v_and_or_b32 v0, v1, s9, v0
	v_sub_u32_e32 v8, 0x3f1, v4
	v_or_b32_e32 v1, 0x1000, v0
	v_med3_i32 v8, v8, 0, 13
	v_lshrrev_b32_e32 v12, v8, v1
	v_lshlrev_b32_e32 v8, v8, v12
	v_cmp_ne_u32_e32 vcc, v8, v1
	v_add_u32_e32 v4, 0xfffffc10, v4
	v_lshl_or_b32 v8, v4, 12, v0
	v_cndmask_b32_e64 v1, 0, 1, vcc
	v_or_b32_e32 v1, v12, v1
	v_cmp_gt_i32_e32 vcc, 1, v4
	v_bitop3_b32 v2, v7, s7, v2 bitop3:0xc8
	s_nop 0
	v_cndmask_b32_e32 v1, v8, v1, vcc
	v_and_b32_e32 v8, 7, v1
	v_cmp_lt_i32_e32 vcc, 5, v8
	v_cmp_eq_u32_e64 s[0:1], 3, v8
	v_lshrrev_b32_e32 v1, 2, v1
	s_or_b64 vcc, s[0:1], vcc
	v_addc_co_u32_e32 v1, vcc, 0, v1, vcc
	v_cmp_gt_i32_e32 vcc, 31, v4
	v_lshrrev_b32_e32 v8, 16, v9
	s_nop 0
	v_cndmask_b32_e32 v1, v3, v1, vcc
	v_cmp_ne_u32_e32 vcc, 0, v0
	s_nop 1
	v_cndmask_b32_e64 v0, 0, 1, vcc
	v_lshl_or_b32 v0, v0, 9, v3
	v_cmp_eq_u32_e32 vcc, s10, v4
	s_nop 1
	v_cndmask_b32_e32 v4, v1, v0, vcc
	ds_read2_b32 v[0:1], v167 offset0:12 offset1:255
	v_and_or_b32 v4, v8, s6, v4
	v_lshl_or_b32 v2, v4, 16, v2
	v_mad_u64_u32 v[8:9], s[0:1], s4, v182, v[10:11]
	s_waitcnt lgkmcnt(0)
	v_lshrrev_b32_e32 v4, 16, v0
	v_mul_f16_sdwa v7, v156, v4 dst_sel:DWORD dst_unused:UNUSED_PAD src0_sel:WORD_1 src1_sel:DWORD
	v_fma_f16 v7, v156, v0, v7
	v_cvt_f32_f16_e32 v7, v7
	v_add_u32_e32 v9, s11, v9
	global_store_dword v[8:9], v2, off
	v_mul_f16_sdwa v0, v156, v0 dst_sel:DWORD dst_unused:UNUSED_PAD src0_sel:WORD_1 src1_sel:DWORD
	v_cvt_f64_f32_e32 v[10:11], v7
	v_mul_f64 v[10:11], v[10:11], s[2:3]
	v_and_or_b32 v2, v11, s8, v10
	v_cmp_ne_u32_e32 vcc, 0, v2
	v_lshrrev_b32_e32 v7, 8, v11
	v_bfe_u32 v10, v11, 20, 11
	v_cndmask_b32_e64 v2, 0, 1, vcc
	v_and_or_b32 v2, v7, s9, v2
	v_sub_u32_e32 v12, 0x3f1, v10
	v_or_b32_e32 v7, 0x1000, v2
	v_med3_i32 v12, v12, 0, 13
	v_lshrrev_b32_e32 v13, v12, v7
	v_lshlrev_b32_e32 v12, v12, v13
	v_cmp_ne_u32_e32 vcc, v12, v7
	v_add_u32_e32 v10, 0xfffffc10, v10
	v_lshl_or_b32 v12, v10, 12, v2
	v_cndmask_b32_e64 v7, 0, 1, vcc
	v_or_b32_e32 v7, v13, v7
	v_cmp_gt_i32_e32 vcc, 1, v10
	v_fma_f16 v0, v156, v4, -v0
	v_cvt_f32_f16_e32 v0, v0
	v_cndmask_b32_e32 v7, v12, v7, vcc
	v_and_b32_e32 v12, 7, v7
	v_cmp_lt_i32_e32 vcc, 5, v12
	v_cmp_eq_u32_e64 s[0:1], 3, v12
	v_lshrrev_b32_e32 v7, 2, v7
	s_or_b64 vcc, s[0:1], vcc
	v_addc_co_u32_e32 v7, vcc, 0, v7, vcc
	v_cmp_gt_i32_e32 vcc, 31, v10
	v_and_b32_sdwa v4, v11, s6 dst_sel:DWORD dst_unused:UNUSED_PAD src0_sel:WORD_1 src1_sel:DWORD
	s_nop 0
	v_cndmask_b32_e32 v7, v3, v7, vcc
	v_cmp_ne_u32_e32 vcc, 0, v2
	s_nop 1
	v_cndmask_b32_e64 v2, 0, 1, vcc
	v_cmp_eq_u32_e32 vcc, s10, v10
	v_cvt_f64_f32_e32 v[10:11], v0
	v_mul_f64 v[10:11], v[10:11], s[2:3]
	v_lshl_or_b32 v2, v2, 9, v3
	v_and_or_b32 v0, v11, s8, v10
	v_cndmask_b32_e32 v2, v7, v2, vcc
	v_cmp_ne_u32_e32 vcc, 0, v0
	v_lshrrev_b32_e32 v7, 8, v11
	v_bfe_u32 v10, v11, 20, 11
	v_cndmask_b32_e64 v0, 0, 1, vcc
	v_and_or_b32 v0, v7, s9, v0
	v_sub_u32_e32 v12, 0x3f1, v10
	v_or_b32_e32 v7, 0x1000, v0
	v_med3_i32 v12, v12, 0, 13
	v_lshrrev_b32_e32 v13, v12, v7
	v_lshlrev_b32_e32 v12, v12, v13
	v_cmp_ne_u32_e32 vcc, v12, v7
	v_add_u32_e32 v10, 0xfffffc10, v10
	v_lshl_or_b32 v12, v10, 12, v0
	v_cndmask_b32_e64 v7, 0, 1, vcc
	v_or_b32_e32 v7, v13, v7
	v_cmp_gt_i32_e32 vcc, 1, v10
	v_bitop3_b32 v2, v4, s7, v2 bitop3:0xc8
	s_nop 0
	v_cndmask_b32_e32 v7, v12, v7, vcc
	v_and_b32_e32 v12, 7, v7
	v_cmp_lt_i32_e32 vcc, 5, v12
	v_cmp_eq_u32_e64 s[0:1], 3, v12
	v_lshrrev_b32_e32 v7, 2, v7
	s_or_b64 vcc, s[0:1], vcc
	v_addc_co_u32_e32 v7, vcc, 0, v7, vcc
	v_cmp_gt_i32_e32 vcc, 31, v10
	s_nop 1
	v_cndmask_b32_e32 v7, v3, v7, vcc
	v_cmp_ne_u32_e32 vcc, 0, v0
	s_nop 1
	v_cndmask_b32_e64 v0, 0, 1, vcc
	v_lshl_or_b32 v0, v0, 9, v3
	v_cmp_eq_u32_e32 vcc, s10, v10
	s_nop 1
	v_cndmask_b32_e32 v0, v7, v0, vcc
	v_lshrrev_b32_e32 v7, 16, v11
	v_and_or_b32 v0, v7, s6, v0
	v_lshl_or_b32 v0, v0, 16, v2
	v_lshrrev_b32_e32 v2, 16, v5
	v_mul_f16_sdwa v4, v160, v2 dst_sel:DWORD dst_unused:UNUSED_PAD src0_sel:WORD_1 src1_sel:DWORD
	v_fma_f16 v4, v160, v5, v4
	v_cvt_f32_f16_e32 v4, v4
	v_mad_u64_u32 v[10:11], s[0:1], s4, v235, v[8:9]
	v_add_u32_e32 v11, s5, v11
	v_cvt_f64_f32_e32 v[8:9], v4
	v_mul_f64 v[8:9], v[8:9], s[2:3]
	global_store_dword v[10:11], v0, off
	v_and_or_b32 v0, v9, s8, v8
	v_cmp_ne_u32_e32 vcc, 0, v0
	v_lshrrev_b32_e32 v4, 8, v9
	v_bfe_u32 v7, v9, 20, 11
	v_cndmask_b32_e64 v0, 0, 1, vcc
	v_and_or_b32 v0, v4, s9, v0
	v_sub_u32_e32 v8, 0x3f1, v7
	v_or_b32_e32 v4, 0x1000, v0
	v_med3_i32 v8, v8, 0, 13
	v_lshrrev_b32_e32 v12, v8, v4
	v_lshlrev_b32_e32 v8, v8, v12
	v_cmp_ne_u32_e32 vcc, v8, v4
	v_add_u32_e32 v7, 0xfffffc10, v7
	v_lshl_or_b32 v8, v7, 12, v0
	v_cndmask_b32_e64 v4, 0, 1, vcc
	v_or_b32_e32 v4, v12, v4
	v_cmp_gt_i32_e32 vcc, 1, v7
	v_mul_f16_sdwa v5, v160, v5 dst_sel:DWORD dst_unused:UNUSED_PAD src0_sel:WORD_1 src1_sel:DWORD
	v_fma_f16 v2, v160, v2, -v5
	v_cndmask_b32_e32 v4, v8, v4, vcc
	v_and_b32_e32 v8, 7, v4
	v_cmp_lt_i32_e32 vcc, 5, v8
	v_cmp_eq_u32_e64 s[0:1], 3, v8
	v_lshrrev_b32_e32 v4, 2, v4
	s_or_b64 vcc, s[0:1], vcc
	v_addc_co_u32_e32 v4, vcc, 0, v4, vcc
	v_cmp_gt_i32_e32 vcc, 31, v7
	v_cvt_f32_f16_e32 v2, v2
	s_nop 0
	v_cndmask_b32_e32 v4, v3, v4, vcc
	v_cmp_ne_u32_e32 vcc, 0, v0
	s_nop 1
	v_cndmask_b32_e64 v0, 0, 1, vcc
	v_lshl_or_b32 v0, v0, 9, v3
	v_cmp_eq_u32_e32 vcc, s10, v7
	v_and_b32_sdwa v7, v9, s6 dst_sel:DWORD dst_unused:UNUSED_PAD src0_sel:WORD_1 src1_sel:DWORD
	s_nop 0
	v_cndmask_b32_e32 v0, v4, v0, vcc
	v_cvt_f64_f32_e32 v[4:5], v2
	v_mul_f64 v[4:5], v[4:5], s[2:3]
	v_and_or_b32 v2, v5, s8, v4
	v_cmp_ne_u32_e32 vcc, 0, v2
	v_lshrrev_b32_e32 v4, 8, v5
	v_bfe_u32 v8, v5, 20, 11
	v_cndmask_b32_e64 v2, 0, 1, vcc
	v_and_or_b32 v2, v4, s9, v2
	v_sub_u32_e32 v9, 0x3f1, v8
	v_or_b32_e32 v4, 0x1000, v2
	v_med3_i32 v9, v9, 0, 13
	v_lshrrev_b32_e32 v12, v9, v4
	v_lshlrev_b32_e32 v9, v9, v12
	v_cmp_ne_u32_e32 vcc, v9, v4
	v_add_u32_e32 v8, 0xfffffc10, v8
	v_lshl_or_b32 v9, v8, 12, v2
	v_cndmask_b32_e64 v4, 0, 1, vcc
	v_or_b32_e32 v4, v12, v4
	v_cmp_gt_i32_e32 vcc, 1, v8
	v_bitop3_b32 v0, v7, s7, v0 bitop3:0xc8
	s_nop 0
	v_cndmask_b32_e32 v4, v9, v4, vcc
	v_and_b32_e32 v9, 7, v4
	v_cmp_lt_i32_e32 vcc, 5, v9
	v_cmp_eq_u32_e64 s[0:1], 3, v9
	v_lshrrev_b32_e32 v4, 2, v4
	s_or_b64 vcc, s[0:1], vcc
	v_addc_co_u32_e32 v4, vcc, 0, v4, vcc
	v_cmp_gt_i32_e32 vcc, 31, v8
	s_nop 1
	v_cndmask_b32_e32 v4, v3, v4, vcc
	v_cmp_ne_u32_e32 vcc, 0, v2
	s_nop 1
	v_cndmask_b32_e64 v2, 0, 1, vcc
	v_cmp_eq_u32_e32 vcc, s10, v8
	ds_read2_b32 v[8:9], v164 offset0:2 offset1:245
	v_lshl_or_b32 v2, v2, 9, v3
	v_cndmask_b32_e32 v2, v4, v2, vcc
	v_lshrrev_b32_e32 v4, 16, v5
	v_and_or_b32 v2, v4, s6, v2
	v_lshl_or_b32 v0, v2, 16, v0
	s_waitcnt lgkmcnt(0)
	v_lshrrev_b32_e32 v2, 16, v8
	v_mul_f16_sdwa v4, v159, v2 dst_sel:DWORD dst_unused:UNUSED_PAD src0_sel:WORD_1 src1_sel:DWORD
	v_fma_f16 v4, v159, v8, v4
	v_cvt_f32_f16_e32 v7, v4
	v_mad_u64_u32 v[4:5], s[0:1], s4, v182, v[10:11]
	v_add_u32_e32 v5, s11, v5
	v_cvt_f64_f32_e32 v[10:11], v7
	v_mul_f64 v[10:11], v[10:11], s[2:3]
	global_store_dword v[4:5], v0, off
	v_and_or_b32 v0, v11, s8, v10
	v_cmp_ne_u32_e32 vcc, 0, v0
	v_lshrrev_b32_e32 v7, 8, v11
	v_bfe_u32 v10, v11, 20, 11
	v_cndmask_b32_e64 v0, 0, 1, vcc
	v_and_or_b32 v0, v7, s9, v0
	v_sub_u32_e32 v12, 0x3f1, v10
	v_or_b32_e32 v7, 0x1000, v0
	v_med3_i32 v12, v12, 0, 13
	v_lshrrev_b32_e32 v13, v12, v7
	v_lshlrev_b32_e32 v12, v12, v13
	v_cmp_ne_u32_e32 vcc, v12, v7
	v_add_u32_e32 v10, 0xfffffc10, v10
	v_lshl_or_b32 v12, v10, 12, v0
	v_cndmask_b32_e64 v7, 0, 1, vcc
	v_or_b32_e32 v7, v13, v7
	v_cmp_gt_i32_e32 vcc, 1, v10
	v_mul_f16_sdwa v8, v159, v8 dst_sel:DWORD dst_unused:UNUSED_PAD src0_sel:WORD_1 src1_sel:DWORD
	v_fma_f16 v2, v159, v2, -v8
	v_cndmask_b32_e32 v7, v12, v7, vcc
	v_and_b32_e32 v12, 7, v7
	v_cmp_lt_i32_e32 vcc, 5, v12
	v_cmp_eq_u32_e64 s[0:1], 3, v12
	v_lshrrev_b32_e32 v7, 2, v7
	s_or_b64 vcc, s[0:1], vcc
	v_addc_co_u32_e32 v7, vcc, 0, v7, vcc
	v_cmp_gt_i32_e32 vcc, 31, v10
	v_cvt_f32_f16_e32 v2, v2
	s_nop 0
	v_cndmask_b32_e32 v7, v3, v7, vcc
	v_cmp_ne_u32_e32 vcc, 0, v0
	s_nop 1
	v_cndmask_b32_e64 v0, 0, 1, vcc
	v_lshl_or_b32 v0, v0, 9, v3
	v_cmp_eq_u32_e32 vcc, s10, v10
	s_nop 1
	v_cndmask_b32_e32 v0, v7, v0, vcc
	v_and_b32_sdwa v7, v11, s6 dst_sel:DWORD dst_unused:UNUSED_PAD src0_sel:WORD_1 src1_sel:DWORD
	v_cvt_f64_f32_e32 v[10:11], v2
	v_mul_f64 v[10:11], v[10:11], s[2:3]
	v_and_or_b32 v2, v11, s8, v10
	v_cmp_ne_u32_e32 vcc, 0, v2
	v_lshrrev_b32_e32 v8, 8, v11
	v_bfe_u32 v10, v11, 20, 11
	v_cndmask_b32_e64 v2, 0, 1, vcc
	v_and_or_b32 v2, v8, s9, v2
	v_sub_u32_e32 v12, 0x3f1, v10
	v_or_b32_e32 v8, 0x1000, v2
	v_med3_i32 v12, v12, 0, 13
	v_lshrrev_b32_e32 v13, v12, v8
	v_lshlrev_b32_e32 v12, v12, v13
	v_cmp_ne_u32_e32 vcc, v12, v8
	v_add_u32_e32 v10, 0xfffffc10, v10
	v_lshl_or_b32 v12, v10, 12, v2
	v_cndmask_b32_e64 v8, 0, 1, vcc
	v_or_b32_e32 v8, v13, v8
	v_cmp_gt_i32_e32 vcc, 1, v10
	v_bitop3_b32 v0, v7, s7, v0 bitop3:0xc8
	s_nop 0
	v_cndmask_b32_e32 v8, v12, v8, vcc
	v_and_b32_e32 v12, 7, v8
	v_cmp_lt_i32_e32 vcc, 5, v12
	v_cmp_eq_u32_e64 s[0:1], 3, v12
	v_lshrrev_b32_e32 v8, 2, v8
	s_or_b64 vcc, s[0:1], vcc
	v_addc_co_u32_e32 v8, vcc, 0, v8, vcc
	v_cmp_gt_i32_e32 vcc, 31, v10
	s_nop 1
	v_cndmask_b32_e32 v8, v3, v8, vcc
	v_cmp_ne_u32_e32 vcc, 0, v2
	s_nop 1
	v_cndmask_b32_e64 v2, 0, 1, vcc
	v_lshl_or_b32 v2, v2, 9, v3
	v_cmp_eq_u32_e32 vcc, s10, v10
	s_nop 1
	v_cndmask_b32_e32 v2, v8, v2, vcc
	v_lshrrev_b32_e32 v8, 16, v11
	v_and_or_b32 v2, v8, s6, v2
	v_lshl_or_b32 v0, v2, 16, v0
	v_lshrrev_b32_e32 v2, 16, v1
	v_mul_f16_sdwa v7, v157, v2 dst_sel:DWORD dst_unused:UNUSED_PAD src0_sel:WORD_1 src1_sel:DWORD
	v_fma_f16 v7, v157, v1, v7
	v_cvt_f32_f16_e32 v7, v7
	v_mad_u64_u32 v[10:11], s[0:1], s4, v182, v[4:5]
	v_add_u32_e32 v11, s11, v11
	v_cvt_f64_f32_e32 v[4:5], v7
	v_mul_f64 v[4:5], v[4:5], s[2:3]
	global_store_dword v[10:11], v0, off
	v_and_or_b32 v0, v5, s8, v4
	v_cmp_ne_u32_e32 vcc, 0, v0
	v_lshrrev_b32_e32 v4, 8, v5
	v_bfe_u32 v7, v5, 20, 11
	v_cndmask_b32_e64 v0, 0, 1, vcc
	v_and_or_b32 v0, v4, s9, v0
	v_sub_u32_e32 v8, 0x3f1, v7
	v_or_b32_e32 v4, 0x1000, v0
	v_med3_i32 v8, v8, 0, 13
	v_lshrrev_b32_e32 v12, v8, v4
	v_lshlrev_b32_e32 v8, v8, v12
	v_cmp_ne_u32_e32 vcc, v8, v4
	v_add_u32_e32 v7, 0xfffffc10, v7
	v_lshl_or_b32 v8, v7, 12, v0
	v_cndmask_b32_e64 v4, 0, 1, vcc
	v_or_b32_e32 v4, v12, v4
	v_cmp_gt_i32_e32 vcc, 1, v7
	v_mul_f16_sdwa v1, v157, v1 dst_sel:DWORD dst_unused:UNUSED_PAD src0_sel:WORD_1 src1_sel:DWORD
	v_fma_f16 v1, v157, v2, -v1
	v_cndmask_b32_e32 v4, v8, v4, vcc
	v_and_b32_e32 v8, 7, v4
	v_cmp_lt_i32_e32 vcc, 5, v8
	v_cmp_eq_u32_e64 s[0:1], 3, v8
	v_lshrrev_b32_e32 v4, 2, v4
	s_or_b64 vcc, s[0:1], vcc
	v_addc_co_u32_e32 v4, vcc, 0, v4, vcc
	v_cmp_gt_i32_e32 vcc, 31, v7
	v_cvt_f32_f16_e32 v1, v1
	s_nop 0
	v_cndmask_b32_e32 v4, v3, v4, vcc
	v_cmp_ne_u32_e32 vcc, 0, v0
	s_nop 1
	v_cndmask_b32_e64 v0, 0, 1, vcc
	v_lshl_or_b32 v0, v0, 9, v3
	v_cmp_eq_u32_e32 vcc, s10, v7
	v_and_b32_sdwa v7, v5, s6 dst_sel:DWORD dst_unused:UNUSED_PAD src0_sel:WORD_1 src1_sel:DWORD
	s_nop 0
	v_cndmask_b32_e32 v2, v4, v0, vcc
	v_cvt_f64_f32_e32 v[0:1], v1
	v_mul_f64 v[0:1], v[0:1], s[2:3]
	v_and_or_b32 v0, v1, s8, v0
	v_cmp_ne_u32_e32 vcc, 0, v0
	v_lshrrev_b32_e32 v4, 8, v1
	v_bfe_u32 v5, v1, 20, 11
	v_cndmask_b32_e64 v0, 0, 1, vcc
	v_and_or_b32 v0, v4, s9, v0
	v_sub_u32_e32 v8, 0x3f1, v5
	v_or_b32_e32 v4, 0x1000, v0
	v_med3_i32 v8, v8, 0, 13
	v_lshrrev_b32_e32 v12, v8, v4
	v_lshlrev_b32_e32 v8, v8, v12
	v_cmp_ne_u32_e32 vcc, v8, v4
	v_add_u32_e32 v5, 0xfffffc10, v5
	v_lshl_or_b32 v8, v5, 12, v0
	v_cndmask_b32_e64 v4, 0, 1, vcc
	v_or_b32_e32 v4, v12, v4
	v_cmp_gt_i32_e32 vcc, 1, v5
	v_lshrrev_b32_e32 v1, 16, v1
	s_nop 0
	v_cndmask_b32_e32 v4, v8, v4, vcc
	v_and_b32_e32 v8, 7, v4
	v_cmp_lt_i32_e32 vcc, 5, v8
	v_cmp_eq_u32_e64 s[0:1], 3, v8
	v_lshrrev_b32_e32 v4, 2, v4
	s_or_b64 vcc, s[0:1], vcc
	v_addc_co_u32_e32 v4, vcc, 0, v4, vcc
	v_cmp_gt_i32_e32 vcc, 31, v5
	s_nop 1
	v_cndmask_b32_e32 v4, v3, v4, vcc
	v_cmp_ne_u32_e32 vcc, 0, v0
	s_nop 1
	v_cndmask_b32_e64 v0, 0, 1, vcc
	v_lshl_or_b32 v0, v0, 9, v3
	v_cmp_eq_u32_e32 vcc, s10, v5
	s_nop 1
	v_cndmask_b32_e32 v0, v4, v0, vcc
	ds_read2_b32 v[4:5], v158 offset0:10 offset1:253
	v_and_or_b32 v0, v1, s6, v0
	v_bitop3_b32 v1, v7, s7, v2 bitop3:0xc8
	v_lshl_or_b32 v2, v0, 16, v1
	s_waitcnt lgkmcnt(0)
	v_lshrrev_b32_e32 v7, 16, v4
	v_mul_f16_sdwa v0, v154, v7 dst_sel:DWORD dst_unused:UNUSED_PAD src0_sel:WORD_1 src1_sel:DWORD
	v_fma_f16 v0, v154, v4, v0
	v_cvt_f32_f16_e32 v8, v0
	v_mad_u64_u32 v[0:1], s[0:1], s4, v235, v[10:11]
	v_add_u32_e32 v1, s5, v1
	v_cvt_f64_f32_e32 v[10:11], v8
	v_mul_f64 v[10:11], v[10:11], s[2:3]
	global_store_dword v[0:1], v2, off
	v_and_or_b32 v2, v11, s8, v10
	v_cmp_ne_u32_e32 vcc, 0, v2
	v_lshrrev_b32_e32 v8, 8, v11
	v_bfe_u32 v10, v11, 20, 11
	v_cndmask_b32_e64 v2, 0, 1, vcc
	v_and_or_b32 v2, v8, s9, v2
	v_sub_u32_e32 v12, 0x3f1, v10
	v_or_b32_e32 v8, 0x1000, v2
	v_med3_i32 v12, v12, 0, 13
	v_lshrrev_b32_e32 v13, v12, v8
	v_lshlrev_b32_e32 v12, v12, v13
	v_cmp_ne_u32_e32 vcc, v12, v8
	v_add_u32_e32 v10, 0xfffffc10, v10
	v_lshl_or_b32 v12, v10, 12, v2
	v_cndmask_b32_e64 v8, 0, 1, vcc
	v_or_b32_e32 v8, v13, v8
	v_cmp_gt_i32_e32 vcc, 1, v10
	v_mul_f16_sdwa v4, v154, v4 dst_sel:DWORD dst_unused:UNUSED_PAD src0_sel:WORD_1 src1_sel:DWORD
	v_fma_f16 v4, v154, v7, -v4
	v_cndmask_b32_e32 v8, v12, v8, vcc
	v_and_b32_e32 v12, 7, v8
	v_cmp_lt_i32_e32 vcc, 5, v12
	v_cmp_eq_u32_e64 s[0:1], 3, v12
	v_lshrrev_b32_e32 v8, 2, v8
	s_or_b64 vcc, s[0:1], vcc
	v_cvt_f32_f16_e32 v4, v4
	v_addc_co_u32_e32 v8, vcc, 0, v8, vcc
	v_cmp_gt_i32_e32 vcc, 31, v10
	v_and_b32_sdwa v7, v11, s6 dst_sel:DWORD dst_unused:UNUSED_PAD src0_sel:WORD_1 src1_sel:DWORD
	s_nop 0
	v_cndmask_b32_e32 v8, v3, v8, vcc
	v_cmp_ne_u32_e32 vcc, 0, v2
	s_nop 1
	v_cndmask_b32_e64 v2, 0, 1, vcc
	v_cmp_eq_u32_e32 vcc, s10, v10
	v_cvt_f64_f32_e32 v[10:11], v4
	v_mul_f64 v[10:11], v[10:11], s[2:3]
	v_lshl_or_b32 v2, v2, 9, v3
	v_and_or_b32 v4, v11, s8, v10
	v_cndmask_b32_e32 v2, v8, v2, vcc
	v_cmp_ne_u32_e32 vcc, 0, v4
	v_lshrrev_b32_e32 v8, 8, v11
	v_bfe_u32 v10, v11, 20, 11
	v_cndmask_b32_e64 v4, 0, 1, vcc
	v_and_or_b32 v4, v8, s9, v4
	v_sub_u32_e32 v12, 0x3f1, v10
	v_or_b32_e32 v8, 0x1000, v4
	v_med3_i32 v12, v12, 0, 13
	v_lshrrev_b32_e32 v13, v12, v8
	v_lshlrev_b32_e32 v12, v12, v13
	v_cmp_ne_u32_e32 vcc, v12, v8
	v_add_u32_e32 v10, 0xfffffc10, v10
	v_lshl_or_b32 v12, v10, 12, v4
	v_cndmask_b32_e64 v8, 0, 1, vcc
	v_or_b32_e32 v8, v13, v8
	v_cmp_gt_i32_e32 vcc, 1, v10
	v_bitop3_b32 v2, v7, s7, v2 bitop3:0xc8
	s_nop 0
	v_cndmask_b32_e32 v8, v12, v8, vcc
	v_and_b32_e32 v12, 7, v8
	v_cmp_lt_i32_e32 vcc, 5, v12
	v_cmp_eq_u32_e64 s[0:1], 3, v12
	v_lshrrev_b32_e32 v8, 2, v8
	s_or_b64 vcc, s[0:1], vcc
	v_addc_co_u32_e32 v8, vcc, 0, v8, vcc
	v_cmp_gt_i32_e32 vcc, 31, v10
	s_nop 1
	v_cndmask_b32_e32 v8, v3, v8, vcc
	v_cmp_ne_u32_e32 vcc, 0, v4
	s_nop 1
	v_cndmask_b32_e64 v4, 0, 1, vcc
	v_lshl_or_b32 v4, v4, 9, v3
	v_cmp_eq_u32_e32 vcc, s10, v10
	s_nop 1
	v_cndmask_b32_e32 v4, v8, v4, vcc
	v_lshrrev_b32_e32 v8, 16, v11
	v_and_or_b32 v4, v8, s6, v4
	v_lshl_or_b32 v2, v4, 16, v2
	v_lshrrev_b32_e32 v4, 16, v9
	v_mul_f16_sdwa v7, v153, v4 dst_sel:DWORD dst_unused:UNUSED_PAD src0_sel:WORD_1 src1_sel:DWORD
	v_fma_f16 v7, v153, v9, v7
	v_cvt_f32_f16_e32 v7, v7
	v_mad_u64_u32 v[10:11], s[0:1], s4, v182, v[0:1]
	v_add_u32_e32 v11, s11, v11
	v_cvt_f64_f32_e32 v[0:1], v7
	v_mul_f64 v[0:1], v[0:1], s[2:3]
	v_and_or_b32 v0, v1, s8, v0
	v_cmp_ne_u32_e32 vcc, 0, v0
	global_store_dword v[10:11], v2, off
	v_lshrrev_b32_e32 v2, 8, v1
	v_cndmask_b32_e64 v0, 0, 1, vcc
	v_bfe_u32 v7, v1, 20, 11
	v_and_or_b32 v0, v2, s9, v0
	v_sub_u32_e32 v8, 0x3f1, v7
	v_or_b32_e32 v2, 0x1000, v0
	v_med3_i32 v8, v8, 0, 13
	v_lshrrev_b32_e32 v12, v8, v2
	v_lshlrev_b32_e32 v8, v8, v12
	v_cmp_ne_u32_e32 vcc, v8, v2
	v_add_u32_e32 v7, 0xfffffc10, v7
	v_lshl_or_b32 v8, v7, 12, v0
	v_cndmask_b32_e64 v2, 0, 1, vcc
	v_or_b32_e32 v2, v12, v2
	v_cmp_gt_i32_e32 vcc, 1, v7
	s_nop 1
	v_cndmask_b32_e32 v2, v8, v2, vcc
	v_and_b32_e32 v8, 7, v2
	v_cmp_lt_i32_e32 vcc, 5, v8
	v_cmp_eq_u32_e64 s[0:1], 3, v8
	v_lshrrev_b32_e32 v2, 2, v2
	s_or_b64 vcc, s[0:1], vcc
	v_mul_f16_sdwa v8, v153, v9 dst_sel:DWORD dst_unused:UNUSED_PAD src0_sel:WORD_1 src1_sel:DWORD
	v_addc_co_u32_e32 v2, vcc, 0, v2, vcc
	v_fma_f16 v4, v153, v4, -v8
	v_cmp_gt_i32_e32 vcc, 31, v7
	v_cvt_f32_f16_e32 v4, v4
	s_nop 0
	v_cndmask_b32_e32 v2, v3, v2, vcc
	v_cmp_ne_u32_e32 vcc, 0, v0
	s_nop 1
	v_cndmask_b32_e64 v0, 0, 1, vcc
	v_lshl_or_b32 v0, v0, 9, v3
	v_cmp_eq_u32_e32 vcc, s10, v7
	v_and_b32_sdwa v7, v1, s6 dst_sel:DWORD dst_unused:UNUSED_PAD src0_sel:WORD_1 src1_sel:DWORD
	s_nop 0
	v_cndmask_b32_e32 v2, v2, v0, vcc
	v_cvt_f64_f32_e32 v[0:1], v4
	v_mul_f64 v[8:9], v[0:1], s[2:3]
	v_and_or_b32 v0, v9, s8, v8
	v_cmp_ne_u32_e32 vcc, 0, v0
	v_lshrrev_b32_e32 v1, 8, v9
	v_bfe_u32 v4, v9, 20, 11
	v_cndmask_b32_e64 v0, 0, 1, vcc
	v_and_or_b32 v0, v1, s9, v0
	v_sub_u32_e32 v8, 0x3f1, v4
	v_or_b32_e32 v1, 0x1000, v0
	v_med3_i32 v8, v8, 0, 13
	v_lshrrev_b32_e32 v12, v8, v1
	v_lshlrev_b32_e32 v8, v8, v12
	v_cmp_ne_u32_e32 vcc, v8, v1
	v_add_u32_e32 v4, 0xfffffc10, v4
	v_lshl_or_b32 v8, v4, 12, v0
	v_cndmask_b32_e64 v1, 0, 1, vcc
	v_or_b32_e32 v1, v12, v1
	v_cmp_gt_i32_e32 vcc, 1, v4
	v_bitop3_b32 v2, v7, s7, v2 bitop3:0xc8
	s_nop 0
	v_cndmask_b32_e32 v1, v8, v1, vcc
	v_and_b32_e32 v8, 7, v1
	v_cmp_lt_i32_e32 vcc, 5, v8
	v_cmp_eq_u32_e64 s[0:1], 3, v8
	v_lshrrev_b32_e32 v1, 2, v1
	s_or_b64 vcc, s[0:1], vcc
	v_addc_co_u32_e32 v1, vcc, 0, v1, vcc
	v_cmp_gt_i32_e32 vcc, 31, v4
	v_lshrrev_b32_e32 v8, 16, v9
	s_nop 0
	v_cndmask_b32_e32 v1, v3, v1, vcc
	v_cmp_ne_u32_e32 vcc, 0, v0
	s_nop 1
	v_cndmask_b32_e64 v0, 0, 1, vcc
	v_lshl_or_b32 v0, v0, 9, v3
	v_cmp_eq_u32_e32 vcc, s10, v4
	s_nop 1
	v_cndmask_b32_e32 v4, v1, v0, vcc
	ds_read2_b32 v[0:1], v155 offset0:2 offset1:245
	v_and_or_b32 v4, v8, s6, v4
	v_lshl_or_b32 v2, v4, 16, v2
	v_mad_u64_u32 v[8:9], s[0:1], s4, v182, v[10:11]
	s_waitcnt lgkmcnt(0)
	v_lshrrev_b32_e32 v4, 16, v0
	v_mul_f16_sdwa v7, v151, v4 dst_sel:DWORD dst_unused:UNUSED_PAD src0_sel:WORD_1 src1_sel:DWORD
	v_fma_f16 v7, v151, v0, v7
	v_cvt_f32_f16_e32 v7, v7
	v_add_u32_e32 v9, s11, v9
	global_store_dword v[8:9], v2, off
	v_mul_f16_sdwa v0, v151, v0 dst_sel:DWORD dst_unused:UNUSED_PAD src0_sel:WORD_1 src1_sel:DWORD
	v_cvt_f64_f32_e32 v[10:11], v7
	v_mul_f64 v[10:11], v[10:11], s[2:3]
	v_and_or_b32 v2, v11, s8, v10
	v_cmp_ne_u32_e32 vcc, 0, v2
	v_lshrrev_b32_e32 v7, 8, v11
	v_bfe_u32 v10, v11, 20, 11
	v_cndmask_b32_e64 v2, 0, 1, vcc
	v_and_or_b32 v2, v7, s9, v2
	v_sub_u32_e32 v12, 0x3f1, v10
	v_or_b32_e32 v7, 0x1000, v2
	v_med3_i32 v12, v12, 0, 13
	v_lshrrev_b32_e32 v13, v12, v7
	v_lshlrev_b32_e32 v12, v12, v13
	v_cmp_ne_u32_e32 vcc, v12, v7
	v_add_u32_e32 v10, 0xfffffc10, v10
	v_lshl_or_b32 v12, v10, 12, v2
	v_cndmask_b32_e64 v7, 0, 1, vcc
	v_or_b32_e32 v7, v13, v7
	v_cmp_gt_i32_e32 vcc, 1, v10
	v_fma_f16 v0, v151, v4, -v0
	v_cvt_f32_f16_e32 v0, v0
	v_cndmask_b32_e32 v7, v12, v7, vcc
	v_and_b32_e32 v12, 7, v7
	v_cmp_lt_i32_e32 vcc, 5, v12
	v_cmp_eq_u32_e64 s[0:1], 3, v12
	v_lshrrev_b32_e32 v7, 2, v7
	s_or_b64 vcc, s[0:1], vcc
	v_addc_co_u32_e32 v7, vcc, 0, v7, vcc
	v_cmp_gt_i32_e32 vcc, 31, v10
	v_and_b32_sdwa v4, v11, s6 dst_sel:DWORD dst_unused:UNUSED_PAD src0_sel:WORD_1 src1_sel:DWORD
	s_nop 0
	v_cndmask_b32_e32 v7, v3, v7, vcc
	v_cmp_ne_u32_e32 vcc, 0, v2
	s_nop 1
	v_cndmask_b32_e64 v2, 0, 1, vcc
	v_cmp_eq_u32_e32 vcc, s10, v10
	v_cvt_f64_f32_e32 v[10:11], v0
	v_mul_f64 v[10:11], v[10:11], s[2:3]
	v_lshl_or_b32 v2, v2, 9, v3
	v_and_or_b32 v0, v11, s8, v10
	v_cndmask_b32_e32 v2, v7, v2, vcc
	v_cmp_ne_u32_e32 vcc, 0, v0
	v_lshrrev_b32_e32 v7, 8, v11
	v_bfe_u32 v10, v11, 20, 11
	v_cndmask_b32_e64 v0, 0, 1, vcc
	v_and_or_b32 v0, v7, s9, v0
	v_sub_u32_e32 v12, 0x3f1, v10
	v_or_b32_e32 v7, 0x1000, v0
	v_med3_i32 v12, v12, 0, 13
	v_lshrrev_b32_e32 v13, v12, v7
	v_lshlrev_b32_e32 v12, v12, v13
	v_cmp_ne_u32_e32 vcc, v12, v7
	v_add_u32_e32 v10, 0xfffffc10, v10
	v_lshl_or_b32 v12, v10, 12, v0
	v_cndmask_b32_e64 v7, 0, 1, vcc
	v_or_b32_e32 v7, v13, v7
	v_cmp_gt_i32_e32 vcc, 1, v10
	v_bitop3_b32 v2, v4, s7, v2 bitop3:0xc8
	s_nop 0
	v_cndmask_b32_e32 v7, v12, v7, vcc
	v_and_b32_e32 v12, 7, v7
	v_cmp_lt_i32_e32 vcc, 5, v12
	v_cmp_eq_u32_e64 s[0:1], 3, v12
	v_lshrrev_b32_e32 v7, 2, v7
	s_or_b64 vcc, s[0:1], vcc
	v_addc_co_u32_e32 v7, vcc, 0, v7, vcc
	v_cmp_gt_i32_e32 vcc, 31, v10
	v_mad_u64_u32 v[8:9], s[0:1], s4, v235, v[8:9]
	s_nop 0
	v_cndmask_b32_e32 v7, v3, v7, vcc
	v_cmp_ne_u32_e32 vcc, 0, v0
	v_add_u32_e32 v9, s5, v9
	s_nop 0
	v_cndmask_b32_e64 v0, 0, 1, vcc
	v_lshl_or_b32 v0, v0, 9, v3
	v_cmp_eq_u32_e32 vcc, s10, v10
	s_nop 1
	v_cndmask_b32_e32 v0, v7, v0, vcc
	v_lshrrev_b32_e32 v7, 16, v11
	v_and_or_b32 v0, v7, s6, v0
	v_lshl_or_b32 v0, v0, 16, v2
	v_lshrrev_b32_e32 v2, 16, v5
	v_mul_f16_sdwa v4, v150, v2 dst_sel:DWORD dst_unused:UNUSED_PAD src0_sel:WORD_1 src1_sel:DWORD
	v_fma_f16 v4, v150, v5, v4
	v_cvt_f32_f16_e32 v4, v4
	global_store_dword v[8:9], v0, off
	v_mul_f16_sdwa v5, v150, v5 dst_sel:DWORD dst_unused:UNUSED_PAD src0_sel:WORD_1 src1_sel:DWORD
	v_fma_f16 v2, v150, v2, -v5
	v_cvt_f64_f32_e32 v[10:11], v4
	v_mul_f64 v[10:11], v[10:11], s[2:3]
	v_and_or_b32 v0, v11, s8, v10
	v_cmp_ne_u32_e32 vcc, 0, v0
	v_lshrrev_b32_e32 v4, 8, v11
	v_bfe_u32 v7, v11, 20, 11
	v_cndmask_b32_e64 v0, 0, 1, vcc
	v_and_or_b32 v0, v4, s9, v0
	v_sub_u32_e32 v10, 0x3f1, v7
	v_or_b32_e32 v4, 0x1000, v0
	v_med3_i32 v10, v10, 0, 13
	v_lshrrev_b32_e32 v12, v10, v4
	v_lshlrev_b32_e32 v10, v10, v12
	v_cmp_ne_u32_e32 vcc, v10, v4
	v_add_u32_e32 v7, 0xfffffc10, v7
	v_lshl_or_b32 v10, v7, 12, v0
	v_cndmask_b32_e64 v4, 0, 1, vcc
	v_or_b32_e32 v4, v12, v4
	v_cmp_gt_i32_e32 vcc, 1, v7
	v_cvt_f32_f16_e32 v2, v2
	s_nop 0
	v_cndmask_b32_e32 v4, v10, v4, vcc
	v_and_b32_e32 v10, 7, v4
	v_cmp_lt_i32_e32 vcc, 5, v10
	v_cmp_eq_u32_e64 s[0:1], 3, v10
	v_lshrrev_b32_e32 v4, 2, v4
	s_or_b64 vcc, s[0:1], vcc
	v_addc_co_u32_e32 v4, vcc, 0, v4, vcc
	v_cmp_gt_i32_e32 vcc, 31, v7
	s_nop 1
	v_cndmask_b32_e32 v4, v3, v4, vcc
	v_cmp_ne_u32_e32 vcc, 0, v0
	s_nop 1
	v_cndmask_b32_e64 v0, 0, 1, vcc
	v_lshl_or_b32 v0, v0, 9, v3
	v_cmp_eq_u32_e32 vcc, s10, v7
	v_and_b32_sdwa v7, v11, s6 dst_sel:DWORD dst_unused:UNUSED_PAD src0_sel:WORD_1 src1_sel:DWORD
	s_nop 0
	v_cndmask_b32_e32 v0, v4, v0, vcc
	v_cvt_f64_f32_e32 v[4:5], v2
	v_mul_f64 v[10:11], v[4:5], s[2:3]
	v_and_or_b32 v2, v11, s8, v10
	v_cmp_ne_u32_e32 vcc, 0, v2
	v_lshrrev_b32_e32 v4, 8, v11
	v_bfe_u32 v5, v11, 20, 11
	v_cndmask_b32_e64 v2, 0, 1, vcc
	v_and_or_b32 v2, v4, s9, v2
	v_sub_u32_e32 v10, 0x3f1, v5
	v_or_b32_e32 v4, 0x1000, v2
	v_med3_i32 v10, v10, 0, 13
	v_lshrrev_b32_e32 v12, v10, v4
	v_lshlrev_b32_e32 v10, v10, v12
	v_cmp_ne_u32_e32 vcc, v10, v4
	v_add_u32_e32 v5, 0xfffffc10, v5
	v_lshl_or_b32 v10, v5, 12, v2
	v_cndmask_b32_e64 v4, 0, 1, vcc
	v_or_b32_e32 v4, v12, v4
	v_cmp_gt_i32_e32 vcc, 1, v5
	v_bitop3_b32 v0, v7, s7, v0 bitop3:0xc8
	s_nop 0
	v_cndmask_b32_e32 v4, v10, v4, vcc
	v_and_b32_e32 v10, 7, v4
	v_cmp_lt_i32_e32 vcc, 5, v10
	v_cmp_eq_u32_e64 s[0:1], 3, v10
	v_lshrrev_b32_e32 v4, 2, v4
	s_or_b64 vcc, s[0:1], vcc
	v_addc_co_u32_e32 v4, vcc, 0, v4, vcc
	v_cmp_gt_i32_e32 vcc, 31, v5
	v_lshrrev_b32_e32 v10, 16, v11
	v_mad_u64_u32 v[8:9], s[0:1], s4, v182, v[8:9]
	v_cndmask_b32_e32 v4, v3, v4, vcc
	v_cmp_ne_u32_e32 vcc, 0, v2
	v_add_u32_e32 v9, s11, v9
	s_nop 0
	v_cndmask_b32_e64 v2, 0, 1, vcc
	v_lshl_or_b32 v2, v2, 9, v3
	v_cmp_eq_u32_e32 vcc, s10, v5
	s_nop 1
	v_cndmask_b32_e32 v2, v4, v2, vcc
	ds_read2_b32 v[4:5], v152 offset0:8 offset1:251
	v_and_or_b32 v2, v10, s6, v2
	v_lshl_or_b32 v0, v2, 16, v0
	global_store_dword v[8:9], v0, off
	s_waitcnt lgkmcnt(0)
	v_lshrrev_b32_e32 v2, 16, v4
	v_mul_f16_sdwa v7, v148, v2 dst_sel:DWORD dst_unused:UNUSED_PAD src0_sel:WORD_1 src1_sel:DWORD
	v_fma_f16 v7, v148, v4, v7
	v_cvt_f32_f16_e32 v7, v7
	v_mul_f16_sdwa v4, v148, v4 dst_sel:DWORD dst_unused:UNUSED_PAD src0_sel:WORD_1 src1_sel:DWORD
	v_fma_f16 v2, v148, v2, -v4
	v_cvt_f32_f16_e32 v2, v2
	v_cvt_f64_f32_e32 v[10:11], v7
	v_mul_f64 v[10:11], v[10:11], s[2:3]
	v_and_or_b32 v0, v11, s8, v10
	v_cmp_ne_u32_e32 vcc, 0, v0
	v_lshrrev_b32_e32 v7, 8, v11
	v_bfe_u32 v10, v11, 20, 11
	v_cndmask_b32_e64 v0, 0, 1, vcc
	v_and_or_b32 v0, v7, s9, v0
	v_sub_u32_e32 v12, 0x3f1, v10
	v_or_b32_e32 v7, 0x1000, v0
	v_med3_i32 v12, v12, 0, 13
	v_lshrrev_b32_e32 v13, v12, v7
	v_lshlrev_b32_e32 v12, v12, v13
	v_cmp_ne_u32_e32 vcc, v12, v7
	v_add_u32_e32 v10, 0xfffffc10, v10
	v_lshl_or_b32 v12, v10, 12, v0
	v_cndmask_b32_e64 v7, 0, 1, vcc
	v_or_b32_e32 v7, v13, v7
	v_cmp_gt_i32_e32 vcc, 1, v10
	v_and_b32_sdwa v4, v11, s6 dst_sel:DWORD dst_unused:UNUSED_PAD src0_sel:WORD_1 src1_sel:DWORD
	s_nop 0
	v_cndmask_b32_e32 v7, v12, v7, vcc
	v_and_b32_e32 v12, 7, v7
	v_cmp_lt_i32_e32 vcc, 5, v12
	v_cmp_eq_u32_e64 s[0:1], 3, v12
	v_lshrrev_b32_e32 v7, 2, v7
	s_or_b64 vcc, s[0:1], vcc
	v_addc_co_u32_e32 v7, vcc, 0, v7, vcc
	v_cmp_gt_i32_e32 vcc, 31, v10
	s_nop 1
	v_cndmask_b32_e32 v7, v3, v7, vcc
	v_cmp_ne_u32_e32 vcc, 0, v0
	s_nop 1
	v_cndmask_b32_e64 v0, 0, 1, vcc
	v_cmp_eq_u32_e32 vcc, s10, v10
	v_cvt_f64_f32_e32 v[10:11], v2
	v_mul_f64 v[10:11], v[10:11], s[2:3]
	v_lshl_or_b32 v0, v0, 9, v3
	v_and_or_b32 v2, v11, s8, v10
	v_cndmask_b32_e32 v0, v7, v0, vcc
	v_cmp_ne_u32_e32 vcc, 0, v2
	v_lshrrev_b32_e32 v7, 8, v11
	v_bfe_u32 v10, v11, 20, 11
	v_cndmask_b32_e64 v2, 0, 1, vcc
	v_and_or_b32 v2, v7, s9, v2
	v_sub_u32_e32 v12, 0x3f1, v10
	v_or_b32_e32 v7, 0x1000, v2
	v_med3_i32 v12, v12, 0, 13
	v_lshrrev_b32_e32 v13, v12, v7
	v_lshlrev_b32_e32 v12, v12, v13
	v_cmp_ne_u32_e32 vcc, v12, v7
	v_add_u32_e32 v10, 0xfffffc10, v10
	v_lshl_or_b32 v12, v10, 12, v2
	v_cndmask_b32_e64 v7, 0, 1, vcc
	v_or_b32_e32 v7, v13, v7
	v_cmp_gt_i32_e32 vcc, 1, v10
	v_bitop3_b32 v0, v4, s7, v0 bitop3:0xc8
	s_nop 0
	v_cndmask_b32_e32 v7, v12, v7, vcc
	v_and_b32_e32 v12, 7, v7
	v_cmp_lt_i32_e32 vcc, 5, v12
	v_cmp_eq_u32_e64 s[0:1], 3, v12
	v_lshrrev_b32_e32 v7, 2, v7
	s_or_b64 vcc, s[0:1], vcc
	v_addc_co_u32_e32 v7, vcc, 0, v7, vcc
	v_cmp_gt_i32_e32 vcc, 31, v10
	v_mad_u64_u32 v[8:9], s[0:1], s4, v182, v[8:9]
	s_nop 0
	v_cndmask_b32_e32 v7, v3, v7, vcc
	v_cmp_ne_u32_e32 vcc, 0, v2
	v_add_u32_e32 v9, s11, v9
	s_nop 0
	v_cndmask_b32_e64 v2, 0, 1, vcc
	v_lshl_or_b32 v2, v2, 9, v3
	v_cmp_eq_u32_e32 vcc, s10, v10
	s_nop 1
	v_cndmask_b32_e32 v2, v7, v2, vcc
	v_lshrrev_b32_e32 v7, 16, v11
	v_and_or_b32 v2, v7, s6, v2
	v_lshl_or_b32 v0, v2, 16, v0
	v_lshrrev_b32_e32 v2, 16, v1
	v_mul_f16_sdwa v4, v147, v2 dst_sel:DWORD dst_unused:UNUSED_PAD src0_sel:WORD_1 src1_sel:DWORD
	v_fma_f16 v4, v147, v1, v4
	v_cvt_f32_f16_e32 v4, v4
	global_store_dword v[8:9], v0, off
	v_mul_f16_sdwa v1, v147, v1 dst_sel:DWORD dst_unused:UNUSED_PAD src0_sel:WORD_1 src1_sel:DWORD
	v_fma_f16 v1, v147, v2, -v1
	v_cvt_f64_f32_e32 v[10:11], v4
	v_mul_f64 v[10:11], v[10:11], s[2:3]
	v_and_or_b32 v0, v11, s8, v10
	v_cmp_ne_u32_e32 vcc, 0, v0
	v_lshrrev_b32_e32 v4, 8, v11
	v_bfe_u32 v7, v11, 20, 11
	v_cndmask_b32_e64 v0, 0, 1, vcc
	v_and_or_b32 v0, v4, s9, v0
	v_sub_u32_e32 v10, 0x3f1, v7
	v_or_b32_e32 v4, 0x1000, v0
	v_med3_i32 v10, v10, 0, 13
	v_lshrrev_b32_e32 v12, v10, v4
	v_lshlrev_b32_e32 v10, v10, v12
	v_cmp_ne_u32_e32 vcc, v10, v4
	v_add_u32_e32 v7, 0xfffffc10, v7
	v_lshl_or_b32 v10, v7, 12, v0
	v_cndmask_b32_e64 v4, 0, 1, vcc
	v_or_b32_e32 v4, v12, v4
	v_cmp_gt_i32_e32 vcc, 1, v7
	v_cvt_f32_f16_e32 v1, v1
	s_nop 0
	v_cndmask_b32_e32 v4, v10, v4, vcc
	v_and_b32_e32 v10, 7, v4
	v_cmp_lt_i32_e32 vcc, 5, v10
	v_cmp_eq_u32_e64 s[0:1], 3, v10
	v_lshrrev_b32_e32 v4, 2, v4
	s_or_b64 vcc, s[0:1], vcc
	v_addc_co_u32_e32 v4, vcc, 0, v4, vcc
	v_cmp_gt_i32_e32 vcc, 31, v7
	s_nop 1
	v_cndmask_b32_e32 v4, v3, v4, vcc
	v_cmp_ne_u32_e32 vcc, 0, v0
	s_nop 1
	v_cndmask_b32_e64 v0, 0, 1, vcc
	v_lshl_or_b32 v0, v0, 9, v3
	v_cmp_eq_u32_e32 vcc, s10, v7
	s_nop 1
	v_cndmask_b32_e32 v2, v4, v0, vcc
	v_cvt_f64_f32_e32 v[0:1], v1
	v_and_b32_sdwa v4, v11, s6 dst_sel:DWORD dst_unused:UNUSED_PAD src0_sel:WORD_1 src1_sel:DWORD
	v_mul_f64 v[10:11], v[0:1], s[2:3]
	v_and_or_b32 v0, v11, s8, v10
	v_cmp_ne_u32_e32 vcc, 0, v0
	v_lshrrev_b32_e32 v1, 8, v11
	v_bfe_u32 v7, v11, 20, 11
	v_cndmask_b32_e64 v0, 0, 1, vcc
	v_and_or_b32 v0, v1, s9, v0
	v_sub_u32_e32 v10, 0x3f1, v7
	v_or_b32_e32 v1, 0x1000, v0
	v_med3_i32 v10, v10, 0, 13
	v_lshrrev_b32_e32 v12, v10, v1
	v_lshlrev_b32_e32 v10, v10, v12
	v_cmp_ne_u32_e32 vcc, v10, v1
	v_add_u32_e32 v7, 0xfffffc10, v7
	v_lshl_or_b32 v10, v7, 12, v0
	v_cndmask_b32_e64 v1, 0, 1, vcc
	v_or_b32_e32 v1, v12, v1
	v_cmp_gt_i32_e32 vcc, 1, v7
	v_bitop3_b32 v2, v4, s7, v2 bitop3:0xc8
	s_nop 0
	v_cndmask_b32_e32 v1, v10, v1, vcc
	v_and_b32_e32 v10, 7, v1
	v_cmp_lt_i32_e32 vcc, 5, v10
	v_cmp_eq_u32_e64 s[0:1], 3, v10
	v_lshrrev_b32_e32 v1, 2, v1
	s_or_b64 vcc, s[0:1], vcc
	v_addc_co_u32_e32 v1, vcc, 0, v1, vcc
	v_cmp_gt_i32_e32 vcc, 31, v7
	v_lshrrev_b32_e32 v10, 16, v11
	v_mad_u64_u32 v[8:9], s[0:1], s4, v235, v[8:9]
	v_cndmask_b32_e32 v1, v3, v1, vcc
	v_cmp_ne_u32_e32 vcc, 0, v0
	v_add_u32_e32 v9, s5, v9
	s_nop 0
	v_cndmask_b32_e64 v0, 0, 1, vcc
	v_lshl_or_b32 v0, v0, 9, v3
	v_cmp_eq_u32_e32 vcc, s10, v7
	s_nop 1
	v_cndmask_b32_e32 v7, v1, v0, vcc
	ds_read2_b32 v[0:1], v149 offset1:243
	v_and_or_b32 v7, v10, s6, v7
	v_lshl_or_b32 v2, v7, 16, v2
	global_store_dword v[8:9], v2, off
	s_waitcnt lgkmcnt(0)
	v_lshrrev_b32_e32 v4, 16, v0
	v_mul_f16_sdwa v7, v146, v4 dst_sel:DWORD dst_unused:UNUSED_PAD src0_sel:WORD_1 src1_sel:DWORD
	v_fma_f16 v7, v146, v0, v7
	v_cvt_f32_f16_e32 v7, v7
	v_mul_f16_sdwa v0, v146, v0 dst_sel:DWORD dst_unused:UNUSED_PAD src0_sel:WORD_1 src1_sel:DWORD
	v_fma_f16 v0, v146, v4, -v0
	v_cvt_f32_f16_e32 v0, v0
	v_cvt_f64_f32_e32 v[10:11], v7
	v_mul_f64 v[10:11], v[10:11], s[2:3]
	v_and_or_b32 v2, v11, s8, v10
	v_cmp_ne_u32_e32 vcc, 0, v2
	v_lshrrev_b32_e32 v7, 8, v11
	v_bfe_u32 v10, v11, 20, 11
	v_cndmask_b32_e64 v2, 0, 1, vcc
	v_and_or_b32 v2, v7, s9, v2
	v_sub_u32_e32 v12, 0x3f1, v10
	v_or_b32_e32 v7, 0x1000, v2
	v_med3_i32 v12, v12, 0, 13
	v_lshrrev_b32_e32 v13, v12, v7
	v_lshlrev_b32_e32 v12, v12, v13
	v_cmp_ne_u32_e32 vcc, v12, v7
	v_add_u32_e32 v10, 0xfffffc10, v10
	v_lshl_or_b32 v12, v10, 12, v2
	v_cndmask_b32_e64 v7, 0, 1, vcc
	v_or_b32_e32 v7, v13, v7
	v_cmp_gt_i32_e32 vcc, 1, v10
	v_and_b32_sdwa v4, v11, s6 dst_sel:DWORD dst_unused:UNUSED_PAD src0_sel:WORD_1 src1_sel:DWORD
	s_nop 0
	v_cndmask_b32_e32 v7, v12, v7, vcc
	v_and_b32_e32 v12, 7, v7
	v_cmp_lt_i32_e32 vcc, 5, v12
	v_cmp_eq_u32_e64 s[0:1], 3, v12
	v_lshrrev_b32_e32 v7, 2, v7
	s_or_b64 vcc, s[0:1], vcc
	v_addc_co_u32_e32 v7, vcc, 0, v7, vcc
	v_cmp_gt_i32_e32 vcc, 31, v10
	s_nop 1
	v_cndmask_b32_e32 v7, v3, v7, vcc
	v_cmp_ne_u32_e32 vcc, 0, v2
	s_nop 1
	v_cndmask_b32_e64 v2, 0, 1, vcc
	v_cmp_eq_u32_e32 vcc, s10, v10
	v_cvt_f64_f32_e32 v[10:11], v0
	v_mul_f64 v[10:11], v[10:11], s[2:3]
	v_lshl_or_b32 v2, v2, 9, v3
	v_and_or_b32 v0, v11, s8, v10
	v_cndmask_b32_e32 v2, v7, v2, vcc
	v_cmp_ne_u32_e32 vcc, 0, v0
	v_lshrrev_b32_e32 v7, 8, v11
	v_bfe_u32 v10, v11, 20, 11
	v_cndmask_b32_e64 v0, 0, 1, vcc
	v_and_or_b32 v0, v7, s9, v0
	v_sub_u32_e32 v12, 0x3f1, v10
	v_or_b32_e32 v7, 0x1000, v0
	v_med3_i32 v12, v12, 0, 13
	v_lshrrev_b32_e32 v13, v12, v7
	v_lshlrev_b32_e32 v12, v12, v13
	v_cmp_ne_u32_e32 vcc, v12, v7
	v_add_u32_e32 v10, 0xfffffc10, v10
	v_lshl_or_b32 v12, v10, 12, v0
	v_cndmask_b32_e64 v7, 0, 1, vcc
	v_or_b32_e32 v7, v13, v7
	v_cmp_gt_i32_e32 vcc, 1, v10
	v_bitop3_b32 v2, v4, s7, v2 bitop3:0xc8
	s_nop 0
	v_cndmask_b32_e32 v7, v12, v7, vcc
	v_and_b32_e32 v12, 7, v7
	v_cmp_lt_i32_e32 vcc, 5, v12
	v_cmp_eq_u32_e64 s[0:1], 3, v12
	v_lshrrev_b32_e32 v7, 2, v7
	s_or_b64 vcc, s[0:1], vcc
	v_addc_co_u32_e32 v7, vcc, 0, v7, vcc
	v_cmp_gt_i32_e32 vcc, 31, v10
	v_mad_u64_u32 v[8:9], s[0:1], s4, v182, v[8:9]
	s_nop 0
	v_cndmask_b32_e32 v7, v3, v7, vcc
	v_cmp_ne_u32_e32 vcc, 0, v0
	v_add_u32_e32 v9, s11, v9
	s_nop 0
	v_cndmask_b32_e64 v0, 0, 1, vcc
	v_lshl_or_b32 v0, v0, 9, v3
	v_cmp_eq_u32_e32 vcc, s10, v10
	s_nop 1
	v_cndmask_b32_e32 v0, v7, v0, vcc
	v_lshrrev_b32_e32 v7, 16, v11
	v_and_or_b32 v0, v7, s6, v0
	v_lshl_or_b32 v0, v0, 16, v2
	v_lshrrev_b32_e32 v2, 16, v5
	v_mul_f16_sdwa v4, v145, v2 dst_sel:DWORD dst_unused:UNUSED_PAD src0_sel:WORD_1 src1_sel:DWORD
	v_fma_f16 v4, v145, v5, v4
	v_cvt_f32_f16_e32 v4, v4
	global_store_dword v[8:9], v0, off
	v_mul_f16_sdwa v5, v145, v5 dst_sel:DWORD dst_unused:UNUSED_PAD src0_sel:WORD_1 src1_sel:DWORD
	v_fma_f16 v2, v145, v2, -v5
	v_cvt_f64_f32_e32 v[10:11], v4
	v_mul_f64 v[10:11], v[10:11], s[2:3]
	v_and_or_b32 v0, v11, s8, v10
	v_cmp_ne_u32_e32 vcc, 0, v0
	v_lshrrev_b32_e32 v4, 8, v11
	v_bfe_u32 v7, v11, 20, 11
	v_cndmask_b32_e64 v0, 0, 1, vcc
	v_and_or_b32 v0, v4, s9, v0
	v_sub_u32_e32 v10, 0x3f1, v7
	v_or_b32_e32 v4, 0x1000, v0
	v_med3_i32 v10, v10, 0, 13
	v_lshrrev_b32_e32 v12, v10, v4
	v_lshlrev_b32_e32 v10, v10, v12
	v_cmp_ne_u32_e32 vcc, v10, v4
	v_add_u32_e32 v7, 0xfffffc10, v7
	v_lshl_or_b32 v10, v7, 12, v0
	v_cndmask_b32_e64 v4, 0, 1, vcc
	v_or_b32_e32 v4, v12, v4
	v_cmp_gt_i32_e32 vcc, 1, v7
	v_cvt_f32_f16_e32 v2, v2
	s_nop 0
	v_cndmask_b32_e32 v4, v10, v4, vcc
	v_and_b32_e32 v10, 7, v4
	v_cmp_lt_i32_e32 vcc, 5, v10
	v_cmp_eq_u32_e64 s[0:1], 3, v10
	v_lshrrev_b32_e32 v4, 2, v4
	s_or_b64 vcc, s[0:1], vcc
	v_addc_co_u32_e32 v4, vcc, 0, v4, vcc
	v_cmp_gt_i32_e32 vcc, 31, v7
	s_nop 1
	v_cndmask_b32_e32 v4, v3, v4, vcc
	v_cmp_ne_u32_e32 vcc, 0, v0
	s_nop 1
	v_cndmask_b32_e64 v0, 0, 1, vcc
	v_lshl_or_b32 v0, v0, 9, v3
	v_cmp_eq_u32_e32 vcc, s10, v7
	v_and_b32_sdwa v7, v11, s6 dst_sel:DWORD dst_unused:UNUSED_PAD src0_sel:WORD_1 src1_sel:DWORD
	s_nop 0
	v_cndmask_b32_e32 v0, v4, v0, vcc
	v_cvt_f64_f32_e32 v[4:5], v2
	v_mul_f64 v[4:5], v[4:5], s[2:3]
	v_and_or_b32 v2, v5, s8, v4
	v_cmp_ne_u32_e32 vcc, 0, v2
	v_lshrrev_b32_e32 v4, 8, v5
	v_bfe_u32 v10, v5, 20, 11
	v_cndmask_b32_e64 v2, 0, 1, vcc
	v_and_or_b32 v2, v4, s9, v2
	v_sub_u32_e32 v11, 0x3f1, v10
	v_or_b32_e32 v4, 0x1000, v2
	v_med3_i32 v11, v11, 0, 13
	v_lshrrev_b32_e32 v12, v11, v4
	v_lshlrev_b32_e32 v11, v11, v12
	v_cmp_ne_u32_e32 vcc, v11, v4
	v_add_u32_e32 v10, 0xfffffc10, v10
	v_lshl_or_b32 v11, v10, 12, v2
	v_cndmask_b32_e64 v4, 0, 1, vcc
	v_or_b32_e32 v4, v12, v4
	v_cmp_gt_i32_e32 vcc, 1, v10
	v_bitop3_b32 v0, v7, s7, v0 bitop3:0xc8
	s_nop 0
	v_cndmask_b32_e32 v4, v11, v4, vcc
	v_and_b32_e32 v11, 7, v4
	v_cmp_lt_i32_e32 vcc, 5, v11
	v_cmp_eq_u32_e64 s[0:1], 3, v11
	v_lshrrev_b32_e32 v4, 2, v4
	s_or_b64 vcc, s[0:1], vcc
	v_addc_co_u32_e32 v4, vcc, 0, v4, vcc
	v_cmp_gt_i32_e32 vcc, 31, v10
	s_nop 1
	v_cndmask_b32_e32 v4, v3, v4, vcc
	v_cmp_ne_u32_e32 vcc, 0, v2
	s_nop 1
	v_cndmask_b32_e64 v2, 0, 1, vcc
	v_lshl_or_b32 v2, v2, 9, v3
	v_cmp_eq_u32_e32 vcc, s10, v10
	s_nop 1
	v_cndmask_b32_e32 v2, v4, v2, vcc
	v_lshrrev_b32_e32 v4, 16, v5
	v_and_or_b32 v2, v4, s6, v2
	v_lshl_or_b32 v0, v2, 16, v0
	v_lshrrev_b32_e32 v2, 16, v6
	v_mul_f16_sdwa v4, v144, v2 dst_sel:DWORD dst_unused:UNUSED_PAD src0_sel:WORD_1 src1_sel:DWORD
	v_fma_f16 v4, v144, v6, v4
	v_cvt_f32_f16_e32 v7, v4
	v_mad_u64_u32 v[4:5], s[0:1], s4, v182, v[8:9]
	v_add_u32_e32 v5, s11, v5
	v_cvt_f64_f32_e32 v[8:9], v7
	v_mul_f64 v[8:9], v[8:9], s[2:3]
	global_store_dword v[4:5], v0, off
	v_and_or_b32 v0, v9, s8, v8
	v_cmp_ne_u32_e32 vcc, 0, v0
	v_lshrrev_b32_e32 v7, 8, v9
	v_bfe_u32 v8, v9, 20, 11
	v_cndmask_b32_e64 v0, 0, 1, vcc
	v_and_or_b32 v0, v7, s9, v0
	v_sub_u32_e32 v10, 0x3f1, v8
	v_or_b32_e32 v7, 0x1000, v0
	v_med3_i32 v10, v10, 0, 13
	v_lshrrev_b32_e32 v11, v10, v7
	v_lshlrev_b32_e32 v10, v10, v11
	v_cmp_ne_u32_e32 vcc, v10, v7
	v_add_u32_e32 v8, 0xfffffc10, v8
	v_lshl_or_b32 v10, v8, 12, v0
	v_cndmask_b32_e64 v7, 0, 1, vcc
	v_or_b32_e32 v7, v11, v7
	v_cmp_gt_i32_e32 vcc, 1, v8
	v_mul_f16_sdwa v6, v144, v6 dst_sel:DWORD dst_unused:UNUSED_PAD src0_sel:WORD_1 src1_sel:DWORD
	v_fma_f16 v2, v144, v2, -v6
	v_cndmask_b32_e32 v7, v10, v7, vcc
	v_and_b32_e32 v10, 7, v7
	v_cmp_lt_i32_e32 vcc, 5, v10
	v_cmp_eq_u32_e64 s[0:1], 3, v10
	v_lshrrev_b32_e32 v7, 2, v7
	s_or_b64 vcc, s[0:1], vcc
	v_addc_co_u32_e32 v7, vcc, 0, v7, vcc
	v_cmp_gt_i32_e32 vcc, 31, v8
	v_cvt_f32_f16_e32 v2, v2
	s_nop 0
	v_cndmask_b32_e32 v7, v3, v7, vcc
	v_cmp_ne_u32_e32 vcc, 0, v0
	s_nop 1
	v_cndmask_b32_e64 v0, 0, 1, vcc
	v_lshl_or_b32 v0, v0, 9, v3
	v_cmp_eq_u32_e32 vcc, s10, v8
	v_and_b32_sdwa v8, v9, s6 dst_sel:DWORD dst_unused:UNUSED_PAD src0_sel:WORD_1 src1_sel:DWORD
	s_nop 0
	v_cndmask_b32_e32 v0, v7, v0, vcc
	v_cvt_f64_f32_e32 v[6:7], v2
	v_mul_f64 v[6:7], v[6:7], s[2:3]
	v_and_or_b32 v2, v7, s8, v6
	v_cmp_ne_u32_e32 vcc, 0, v2
	v_lshrrev_b32_e32 v6, 8, v7
	v_bfe_u32 v9, v7, 20, 11
	v_cndmask_b32_e64 v2, 0, 1, vcc
	v_and_or_b32 v2, v6, s9, v2
	v_sub_u32_e32 v10, 0x3f1, v9
	v_or_b32_e32 v6, 0x1000, v2
	v_med3_i32 v10, v10, 0, 13
	v_lshrrev_b32_e32 v11, v10, v6
	v_lshlrev_b32_e32 v10, v10, v11
	v_cmp_ne_u32_e32 vcc, v10, v6
	v_add_u32_e32 v9, 0xfffffc10, v9
	v_lshl_or_b32 v10, v9, 12, v2
	v_cndmask_b32_e64 v6, 0, 1, vcc
	v_or_b32_e32 v6, v11, v6
	v_cmp_gt_i32_e32 vcc, 1, v9
	v_bitop3_b32 v0, v8, s7, v0 bitop3:0xc8
	s_nop 0
	v_cndmask_b32_e32 v6, v10, v6, vcc
	v_and_b32_e32 v10, 7, v6
	v_cmp_lt_i32_e32 vcc, 5, v10
	v_cmp_eq_u32_e64 s[0:1], 3, v10
	v_lshrrev_b32_e32 v6, 2, v6
	s_or_b64 vcc, s[0:1], vcc
	v_addc_co_u32_e32 v6, vcc, 0, v6, vcc
	v_cmp_gt_i32_e32 vcc, 31, v9
	v_mad_u64_u32 v[4:5], s[0:1], s4, v235, v[4:5]
	s_nop 0
	v_cndmask_b32_e32 v6, v3, v6, vcc
	v_cmp_ne_u32_e32 vcc, 0, v2
	v_add_u32_e32 v5, s5, v5
	s_nop 0
	v_cndmask_b32_e64 v2, 0, 1, vcc
	v_lshl_or_b32 v2, v2, 9, v3
	v_cmp_eq_u32_e32 vcc, s10, v9
	s_nop 1
	v_cndmask_b32_e32 v2, v6, v2, vcc
	v_lshrrev_b32_e32 v6, 16, v7
	v_and_or_b32 v2, v6, s6, v2
	v_lshl_or_b32 v0, v2, 16, v0
	v_lshrrev_b32_e32 v2, 16, v1
	v_mul_f16_sdwa v6, v142, v2 dst_sel:DWORD dst_unused:UNUSED_PAD src0_sel:WORD_1 src1_sel:DWORD
	v_fma_f16 v6, v142, v1, v6
	v_cvt_f32_f16_e32 v6, v6
	global_store_dword v[4:5], v0, off
	v_mul_f16_sdwa v1, v142, v1 dst_sel:DWORD dst_unused:UNUSED_PAD src0_sel:WORD_1 src1_sel:DWORD
	v_fma_f16 v1, v142, v2, -v1
	v_cvt_f64_f32_e32 v[6:7], v6
	v_mul_f64 v[6:7], v[6:7], s[2:3]
	v_and_or_b32 v0, v7, s8, v6
	v_cmp_ne_u32_e32 vcc, 0, v0
	v_lshrrev_b32_e32 v6, 8, v7
	v_bfe_u32 v8, v7, 20, 11
	v_cndmask_b32_e64 v0, 0, 1, vcc
	v_and_or_b32 v0, v6, s9, v0
	v_sub_u32_e32 v9, 0x3f1, v8
	v_or_b32_e32 v6, 0x1000, v0
	v_med3_i32 v9, v9, 0, 13
	v_lshrrev_b32_e32 v10, v9, v6
	v_lshlrev_b32_e32 v9, v9, v10
	v_cmp_ne_u32_e32 vcc, v9, v6
	v_add_u32_e32 v8, 0xfffffc10, v8
	v_lshl_or_b32 v9, v8, 12, v0
	v_cndmask_b32_e64 v6, 0, 1, vcc
	v_or_b32_e32 v6, v10, v6
	v_cmp_gt_i32_e32 vcc, 1, v8
	v_cvt_f32_f16_e32 v1, v1
	s_nop 0
	v_cndmask_b32_e32 v6, v9, v6, vcc
	v_and_b32_e32 v9, 7, v6
	v_cmp_lt_i32_e32 vcc, 5, v9
	v_cmp_eq_u32_e64 s[0:1], 3, v9
	v_lshrrev_b32_e32 v6, 2, v6
	s_or_b64 vcc, s[0:1], vcc
	v_addc_co_u32_e32 v6, vcc, 0, v6, vcc
	v_cmp_gt_i32_e32 vcc, 31, v8
	s_nop 1
	v_cndmask_b32_e32 v6, v3, v6, vcc
	v_cmp_ne_u32_e32 vcc, 0, v0
	s_nop 1
	v_cndmask_b32_e64 v0, 0, 1, vcc
	v_lshl_or_b32 v0, v0, 9, v3
	v_cmp_eq_u32_e32 vcc, s10, v8
	s_nop 1
	v_cndmask_b32_e32 v2, v6, v0, vcc
	v_cvt_f64_f32_e32 v[0:1], v1
	v_mul_f64 v[0:1], v[0:1], s[2:3]
	v_and_or_b32 v0, v1, s8, v0
	v_cmp_ne_u32_e32 vcc, 0, v0
	v_and_b32_sdwa v6, v7, s6 dst_sel:DWORD dst_unused:UNUSED_PAD src0_sel:WORD_1 src1_sel:DWORD
	v_lshrrev_b32_e32 v7, 8, v1
	v_cndmask_b32_e64 v0, 0, 1, vcc
	v_bfe_u32 v8, v1, 20, 11
	v_and_or_b32 v0, v7, s9, v0
	v_sub_u32_e32 v9, 0x3f1, v8
	v_or_b32_e32 v7, 0x1000, v0
	v_med3_i32 v9, v9, 0, 13
	v_lshrrev_b32_e32 v10, v9, v7
	v_lshlrev_b32_e32 v9, v9, v10
	v_cmp_ne_u32_e32 vcc, v9, v7
	v_add_u32_e32 v8, 0xfffffc10, v8
	v_lshl_or_b32 v9, v8, 12, v0
	v_cndmask_b32_e64 v7, 0, 1, vcc
	v_or_b32_e32 v7, v10, v7
	v_cmp_gt_i32_e32 vcc, 1, v8
	v_lshrrev_b32_e32 v1, 16, v1
	s_nop 0
	v_cndmask_b32_e32 v7, v9, v7, vcc
	v_and_b32_e32 v9, 7, v7
	v_cmp_lt_i32_e32 vcc, 5, v9
	v_cmp_eq_u32_e64 s[0:1], 3, v9
	v_lshrrev_b32_e32 v7, 2, v7
	s_or_b64 vcc, s[0:1], vcc
	v_addc_co_u32_e32 v7, vcc, 0, v7, vcc
	v_cmp_gt_i32_e32 vcc, 31, v8
	s_nop 1
	v_cndmask_b32_e32 v7, v3, v7, vcc
	v_cmp_ne_u32_e32 vcc, 0, v0
	s_nop 1
	v_cndmask_b32_e64 v0, 0, 1, vcc
	v_lshl_or_b32 v0, v0, 9, v3
	v_cmp_eq_u32_e32 vcc, s10, v8
	s_nop 1
	v_cndmask_b32_e32 v0, v7, v0, vcc
	ds_read_b32 v7, v236 offset:25272
	v_and_or_b32 v0, v1, s6, v0
	v_bitop3_b32 v1, v6, s7, v2 bitop3:0xc8
	v_lshl_or_b32 v2, v0, 16, v1
	s_waitcnt lgkmcnt(0)
	v_lshrrev_b32_e32 v6, 16, v7
	v_mul_f16_sdwa v0, v143, v6 dst_sel:DWORD dst_unused:UNUSED_PAD src0_sel:WORD_1 src1_sel:DWORD
	v_fma_f16 v0, v143, v7, v0
	v_cvt_f32_f16_e32 v8, v0
	v_mad_u64_u32 v[0:1], s[0:1], s4, v182, v[4:5]
	v_add_u32_e32 v1, s11, v1
	v_cvt_f64_f32_e32 v[4:5], v8
	v_mul_f64 v[4:5], v[4:5], s[2:3]
	global_store_dword v[0:1], v2, off
	v_and_or_b32 v2, v5, s8, v4
	v_cmp_ne_u32_e32 vcc, 0, v2
	v_lshrrev_b32_e32 v4, 8, v5
	v_bfe_u32 v8, v5, 20, 11
	v_cndmask_b32_e64 v2, 0, 1, vcc
	v_and_or_b32 v2, v4, s9, v2
	v_sub_u32_e32 v9, 0x3f1, v8
	v_or_b32_e32 v4, 0x1000, v2
	v_med3_i32 v9, v9, 0, 13
	v_lshrrev_b32_e32 v10, v9, v4
	v_lshlrev_b32_e32 v9, v9, v10
	v_cmp_ne_u32_e32 vcc, v9, v4
	v_add_u32_e32 v8, 0xfffffc10, v8
	v_lshl_or_b32 v9, v8, 12, v2
	v_cndmask_b32_e64 v4, 0, 1, vcc
	v_or_b32_e32 v4, v10, v4
	v_cmp_gt_i32_e32 vcc, 1, v8
	v_mul_f16_sdwa v7, v143, v7 dst_sel:DWORD dst_unused:UNUSED_PAD src0_sel:WORD_1 src1_sel:DWORD
	v_fma_f16 v6, v143, v6, -v7
	v_cndmask_b32_e32 v4, v9, v4, vcc
	v_and_b32_e32 v9, 7, v4
	v_cmp_lt_i32_e32 vcc, 5, v9
	v_cmp_eq_u32_e64 s[0:1], 3, v9
	v_lshrrev_b32_e32 v4, 2, v4
	s_or_b64 vcc, s[0:1], vcc
	v_addc_co_u32_e32 v4, vcc, 0, v4, vcc
	v_cmp_gt_i32_e32 vcc, 31, v8
	v_cvt_f32_f16_e32 v6, v6
	v_and_b32_sdwa v7, v5, s6 dst_sel:DWORD dst_unused:UNUSED_PAD src0_sel:WORD_1 src1_sel:DWORD
	v_cndmask_b32_e32 v4, v3, v4, vcc
	v_cmp_ne_u32_e32 vcc, 0, v2
	s_nop 1
	v_cndmask_b32_e64 v2, 0, 1, vcc
	v_lshl_or_b32 v2, v2, 9, v3
	v_cmp_eq_u32_e32 vcc, s10, v8
	s_nop 1
	v_cndmask_b32_e32 v2, v4, v2, vcc
	v_cvt_f64_f32_e32 v[4:5], v6
	v_mul_f64 v[4:5], v[4:5], s[2:3]
	v_and_or_b32 v4, v5, s8, v4
	v_cmp_ne_u32_e32 vcc, 0, v4
	v_lshrrev_b32_e32 v6, 8, v5
	v_bfe_u32 v8, v5, 20, 11
	v_cndmask_b32_e64 v4, 0, 1, vcc
	v_and_or_b32 v4, v6, s9, v4
	v_sub_u32_e32 v9, 0x3f1, v8
	v_or_b32_e32 v6, 0x1000, v4
	v_med3_i32 v9, v9, 0, 13
	v_lshrrev_b32_e32 v10, v9, v6
	v_lshlrev_b32_e32 v9, v9, v10
	v_cmp_ne_u32_e32 vcc, v9, v6
	v_add_u32_e32 v8, 0xfffffc10, v8
	v_lshl_or_b32 v9, v8, 12, v4
	v_cndmask_b32_e64 v6, 0, 1, vcc
	v_or_b32_e32 v6, v10, v6
	v_cmp_gt_i32_e32 vcc, 1, v8
	v_bitop3_b32 v2, v7, s7, v2 bitop3:0xc8
	s_nop 0
	v_cndmask_b32_e32 v6, v9, v6, vcc
	v_and_b32_e32 v9, 7, v6
	v_cmp_lt_i32_e32 vcc, 5, v9
	v_cmp_eq_u32_e64 s[0:1], 3, v9
	v_lshrrev_b32_e32 v6, 2, v6
	s_or_b64 vcc, s[0:1], vcc
	v_addc_co_u32_e32 v6, vcc, 0, v6, vcc
	v_cmp_gt_i32_e32 vcc, 31, v8
	v_mad_u64_u32 v[0:1], s[0:1], s4, v182, v[0:1]
	s_nop 0
	v_cndmask_b32_e32 v6, v3, v6, vcc
	v_cmp_ne_u32_e32 vcc, 0, v4
	v_add_u32_e32 v1, s11, v1
	s_nop 0
	v_cndmask_b32_e64 v4, 0, 1, vcc
	v_lshl_or_b32 v3, v4, 9, v3
	v_cmp_eq_u32_e32 vcc, s10, v8
	v_lshrrev_b32_e32 v4, 16, v5
	s_nop 0
	v_cndmask_b32_e32 v3, v6, v3, vcc
	v_and_or_b32 v3, v4, s6, v3
	v_lshl_or_b32 v2, v3, 16, v2
	global_store_dword v[0:1], v2, off
.LBB0_2:
	s_endpgm
	.section	.rodata,"a",@progbits
	.p2align	6, 0x0
	.amdhsa_kernel bluestein_single_back_len6561_dim1_half_op_CI_CI
		.amdhsa_group_segment_fixed_size 26244
		.amdhsa_private_segment_fixed_size 0
		.amdhsa_kernarg_size 104
		.amdhsa_user_sgpr_count 2
		.amdhsa_user_sgpr_dispatch_ptr 0
		.amdhsa_user_sgpr_queue_ptr 0
		.amdhsa_user_sgpr_kernarg_segment_ptr 1
		.amdhsa_user_sgpr_dispatch_id 0
		.amdhsa_user_sgpr_kernarg_preload_length 0
		.amdhsa_user_sgpr_kernarg_preload_offset 0
		.amdhsa_user_sgpr_private_segment_size 0
		.amdhsa_uses_dynamic_stack 0
		.amdhsa_enable_private_segment 0
		.amdhsa_system_sgpr_workgroup_id_x 1
		.amdhsa_system_sgpr_workgroup_id_y 0
		.amdhsa_system_sgpr_workgroup_id_z 0
		.amdhsa_system_sgpr_workgroup_info 0
		.amdhsa_system_vgpr_workitem_id 0
		.amdhsa_next_free_vgpr 268
		.amdhsa_next_free_sgpr 17
		.amdhsa_accum_offset 256
		.amdhsa_reserve_vcc 1
		.amdhsa_float_round_mode_32 0
		.amdhsa_float_round_mode_16_64 0
		.amdhsa_float_denorm_mode_32 3
		.amdhsa_float_denorm_mode_16_64 3
		.amdhsa_dx10_clamp 1
		.amdhsa_ieee_mode 1
		.amdhsa_fp16_overflow 0
		.amdhsa_tg_split 0
		.amdhsa_exception_fp_ieee_invalid_op 0
		.amdhsa_exception_fp_denorm_src 0
		.amdhsa_exception_fp_ieee_div_zero 0
		.amdhsa_exception_fp_ieee_overflow 0
		.amdhsa_exception_fp_ieee_underflow 0
		.amdhsa_exception_fp_ieee_inexact 0
		.amdhsa_exception_int_div_zero 0
	.end_amdhsa_kernel
	.text
.Lfunc_end0:
	.size	bluestein_single_back_len6561_dim1_half_op_CI_CI, .Lfunc_end0-bluestein_single_back_len6561_dim1_half_op_CI_CI
                                        ; -- End function
	.section	.AMDGPU.csdata,"",@progbits
; Kernel info:
; codeLenInByte = 51792
; NumSgprs: 23
; NumVgprs: 256
; NumAgprs: 12
; TotalNumVgprs: 268
; ScratchSize: 0
; MemoryBound: 0
; FloatMode: 240
; IeeeMode: 1
; LDSByteSize: 26244 bytes/workgroup (compile time only)
; SGPRBlocks: 2
; VGPRBlocks: 33
; NumSGPRsForWavesPerEU: 23
; NumVGPRsForWavesPerEU: 268
; AccumOffset: 256
; Occupancy: 1
; WaveLimiterHint : 1
; COMPUTE_PGM_RSRC2:SCRATCH_EN: 0
; COMPUTE_PGM_RSRC2:USER_SGPR: 2
; COMPUTE_PGM_RSRC2:TRAP_HANDLER: 0
; COMPUTE_PGM_RSRC2:TGID_X_EN: 1
; COMPUTE_PGM_RSRC2:TGID_Y_EN: 0
; COMPUTE_PGM_RSRC2:TGID_Z_EN: 0
; COMPUTE_PGM_RSRC2:TIDIG_COMP_CNT: 0
; COMPUTE_PGM_RSRC3_GFX90A:ACCUM_OFFSET: 63
; COMPUTE_PGM_RSRC3_GFX90A:TG_SPLIT: 0
	.text
	.p2alignl 6, 3212836864
	.fill 256, 4, 3212836864
	.type	__hip_cuid_f0f52903364ca14e,@object ; @__hip_cuid_f0f52903364ca14e
	.section	.bss,"aw",@nobits
	.globl	__hip_cuid_f0f52903364ca14e
__hip_cuid_f0f52903364ca14e:
	.byte	0                               ; 0x0
	.size	__hip_cuid_f0f52903364ca14e, 1

	.ident	"AMD clang version 19.0.0git (https://github.com/RadeonOpenCompute/llvm-project roc-6.4.0 25133 c7fe45cf4b819c5991fe208aaa96edf142730f1d)"
	.section	".note.GNU-stack","",@progbits
	.addrsig
	.addrsig_sym __hip_cuid_f0f52903364ca14e
	.amdgpu_metadata
---
amdhsa.kernels:
  - .agpr_count:     12
    .args:
      - .actual_access:  read_only
        .address_space:  global
        .offset:         0
        .size:           8
        .value_kind:     global_buffer
      - .actual_access:  read_only
        .address_space:  global
        .offset:         8
        .size:           8
        .value_kind:     global_buffer
      - .actual_access:  read_only
        .address_space:  global
        .offset:         16
        .size:           8
        .value_kind:     global_buffer
      - .actual_access:  read_only
        .address_space:  global
        .offset:         24
        .size:           8
        .value_kind:     global_buffer
      - .actual_access:  read_only
        .address_space:  global
        .offset:         32
        .size:           8
        .value_kind:     global_buffer
      - .offset:         40
        .size:           8
        .value_kind:     by_value
      - .address_space:  global
        .offset:         48
        .size:           8
        .value_kind:     global_buffer
      - .address_space:  global
        .offset:         56
        .size:           8
        .value_kind:     global_buffer
      - .address_space:  global
        .offset:         64
        .size:           8
        .value_kind:     global_buffer
      - .address_space:  global
        .offset:         72
        .size:           8
        .value_kind:     global_buffer
      - .offset:         80
        .size:           4
        .value_kind:     by_value
      - .address_space:  global
        .offset:         88
        .size:           8
        .value_kind:     global_buffer
      - .address_space:  global
        .offset:         96
        .size:           8
        .value_kind:     global_buffer
    .group_segment_fixed_size: 26244
    .kernarg_segment_align: 8
    .kernarg_segment_size: 104
    .language:       OpenCL C
    .language_version:
      - 2
      - 0
    .max_flat_workgroup_size: 243
    .name:           bluestein_single_back_len6561_dim1_half_op_CI_CI
    .private_segment_fixed_size: 0
    .sgpr_count:     23
    .sgpr_spill_count: 0
    .symbol:         bluestein_single_back_len6561_dim1_half_op_CI_CI.kd
    .uniform_work_group_size: 1
    .uses_dynamic_stack: false
    .vgpr_count:     268
    .vgpr_spill_count: 0
    .wavefront_size: 64
amdhsa.target:   amdgcn-amd-amdhsa--gfx950
amdhsa.version:
  - 1
  - 2
...

	.end_amdgpu_metadata
